;; amdgpu-corpus repo=ROCm/rocFFT kind=compiled arch=gfx1201 opt=O3
	.text
	.amdgcn_target "amdgcn-amd-amdhsa--gfx1201"
	.amdhsa_code_object_version 6
	.protected	fft_rtc_back_len1452_factors_11_3_11_4_wgs_132_tpt_132_halfLds_dp_ip_CI_sbrr_dirReg ; -- Begin function fft_rtc_back_len1452_factors_11_3_11_4_wgs_132_tpt_132_halfLds_dp_ip_CI_sbrr_dirReg
	.globl	fft_rtc_back_len1452_factors_11_3_11_4_wgs_132_tpt_132_halfLds_dp_ip_CI_sbrr_dirReg
	.p2align	8
	.type	fft_rtc_back_len1452_factors_11_3_11_4_wgs_132_tpt_132_halfLds_dp_ip_CI_sbrr_dirReg,@function
fft_rtc_back_len1452_factors_11_3_11_4_wgs_132_tpt_132_halfLds_dp_ip_CI_sbrr_dirReg: ; @fft_rtc_back_len1452_factors_11_3_11_4_wgs_132_tpt_132_halfLds_dp_ip_CI_sbrr_dirReg
; %bb.0:
	s_clause 0x2
	s_load_b64 s[12:13], s[0:1], 0x18
	s_load_b128 s[4:7], s[0:1], 0x0
	s_load_b64 s[10:11], s[0:1], 0x50
	v_mul_u32_u24_e32 v1, 0x1f1, v0
	v_mov_b32_e32 v3, 0
	s_delay_alu instid0(VALU_DEP_2) | instskip(NEXT) | instid1(VALU_DEP_1)
	v_lshrrev_b32_e32 v1, 16, v1
	v_add_nc_u32_e32 v5, ttmp9, v1
	v_mov_b32_e32 v1, 0
	v_mov_b32_e32 v2, 0
	;; [unrolled: 1-line block ×3, first 2 shown]
	s_wait_kmcnt 0x0
	s_load_b64 s[8:9], s[12:13], 0x0
	v_cmp_lt_u64_e64 s2, s[6:7], 2
	s_delay_alu instid0(VALU_DEP_1)
	s_and_b32 vcc_lo, exec_lo, s2
	s_cbranch_vccnz .LBB0_8
; %bb.1:
	s_load_b64 s[2:3], s[0:1], 0x10
	v_mov_b32_e32 v1, 0
	v_mov_b32_e32 v2, 0
	s_add_nc_u64 s[14:15], s[12:13], 8
	s_mov_b64 s[16:17], 1
	s_wait_kmcnt 0x0
	s_add_nc_u64 s[18:19], s[2:3], 8
	s_mov_b32 s3, 0
.LBB0_2:                                ; =>This Inner Loop Header: Depth=1
	s_load_b64 s[20:21], s[18:19], 0x0
                                        ; implicit-def: $vgpr7_vgpr8
	s_mov_b32 s2, exec_lo
	s_wait_kmcnt 0x0
	v_or_b32_e32 v4, s21, v6
	s_delay_alu instid0(VALU_DEP_1)
	v_cmpx_ne_u64_e32 0, v[3:4]
	s_wait_alu 0xfffe
	s_xor_b32 s22, exec_lo, s2
	s_cbranch_execz .LBB0_4
; %bb.3:                                ;   in Loop: Header=BB0_2 Depth=1
	s_cvt_f32_u32 s2, s20
	s_cvt_f32_u32 s23, s21
	s_sub_nc_u64 s[26:27], 0, s[20:21]
	s_wait_alu 0xfffe
	s_delay_alu instid0(SALU_CYCLE_1) | instskip(SKIP_1) | instid1(SALU_CYCLE_2)
	s_fmamk_f32 s2, s23, 0x4f800000, s2
	s_wait_alu 0xfffe
	v_s_rcp_f32 s2, s2
	s_delay_alu instid0(TRANS32_DEP_1) | instskip(SKIP_1) | instid1(SALU_CYCLE_2)
	s_mul_f32 s2, s2, 0x5f7ffffc
	s_wait_alu 0xfffe
	s_mul_f32 s23, s2, 0x2f800000
	s_wait_alu 0xfffe
	s_delay_alu instid0(SALU_CYCLE_2) | instskip(SKIP_1) | instid1(SALU_CYCLE_2)
	s_trunc_f32 s23, s23
	s_wait_alu 0xfffe
	s_fmamk_f32 s2, s23, 0xcf800000, s2
	s_cvt_u32_f32 s25, s23
	s_wait_alu 0xfffe
	s_delay_alu instid0(SALU_CYCLE_1) | instskip(SKIP_1) | instid1(SALU_CYCLE_2)
	s_cvt_u32_f32 s24, s2
	s_wait_alu 0xfffe
	s_mul_u64 s[28:29], s[26:27], s[24:25]
	s_wait_alu 0xfffe
	s_mul_hi_u32 s31, s24, s29
	s_mul_i32 s30, s24, s29
	s_mul_hi_u32 s2, s24, s28
	s_mul_i32 s33, s25, s28
	s_wait_alu 0xfffe
	s_add_nc_u64 s[30:31], s[2:3], s[30:31]
	s_mul_hi_u32 s23, s25, s28
	s_mul_hi_u32 s34, s25, s29
	s_add_co_u32 s2, s30, s33
	s_wait_alu 0xfffe
	s_add_co_ci_u32 s2, s31, s23
	s_mul_i32 s28, s25, s29
	s_add_co_ci_u32 s29, s34, 0
	s_wait_alu 0xfffe
	s_add_nc_u64 s[28:29], s[2:3], s[28:29]
	s_wait_alu 0xfffe
	v_add_co_u32 v4, s2, s24, s28
	s_delay_alu instid0(VALU_DEP_1) | instskip(SKIP_1) | instid1(VALU_DEP_1)
	s_cmp_lg_u32 s2, 0
	s_add_co_ci_u32 s25, s25, s29
	v_readfirstlane_b32 s24, v4
	s_wait_alu 0xfffe
	s_delay_alu instid0(VALU_DEP_1)
	s_mul_u64 s[26:27], s[26:27], s[24:25]
	s_wait_alu 0xfffe
	s_mul_hi_u32 s29, s24, s27
	s_mul_i32 s28, s24, s27
	s_mul_hi_u32 s2, s24, s26
	s_mul_i32 s30, s25, s26
	s_wait_alu 0xfffe
	s_add_nc_u64 s[28:29], s[2:3], s[28:29]
	s_mul_hi_u32 s23, s25, s26
	s_mul_hi_u32 s24, s25, s27
	s_wait_alu 0xfffe
	s_add_co_u32 s2, s28, s30
	s_add_co_ci_u32 s2, s29, s23
	s_mul_i32 s26, s25, s27
	s_add_co_ci_u32 s27, s24, 0
	s_wait_alu 0xfffe
	s_add_nc_u64 s[26:27], s[2:3], s[26:27]
	s_wait_alu 0xfffe
	v_add_co_u32 v4, s2, v4, s26
	s_delay_alu instid0(VALU_DEP_1) | instskip(SKIP_1) | instid1(VALU_DEP_1)
	s_cmp_lg_u32 s2, 0
	s_add_co_ci_u32 s2, s25, s27
	v_mul_hi_u32 v13, v5, v4
	s_wait_alu 0xfffe
	v_mad_co_u64_u32 v[7:8], null, v5, s2, 0
	v_mad_co_u64_u32 v[9:10], null, v6, v4, 0
	;; [unrolled: 1-line block ×3, first 2 shown]
	s_delay_alu instid0(VALU_DEP_3) | instskip(SKIP_1) | instid1(VALU_DEP_4)
	v_add_co_u32 v4, vcc_lo, v13, v7
	s_wait_alu 0xfffd
	v_add_co_ci_u32_e32 v7, vcc_lo, 0, v8, vcc_lo
	s_delay_alu instid0(VALU_DEP_2) | instskip(SKIP_1) | instid1(VALU_DEP_2)
	v_add_co_u32 v4, vcc_lo, v4, v9
	s_wait_alu 0xfffd
	v_add_co_ci_u32_e32 v4, vcc_lo, v7, v10, vcc_lo
	s_wait_alu 0xfffd
	v_add_co_ci_u32_e32 v7, vcc_lo, 0, v12, vcc_lo
	s_delay_alu instid0(VALU_DEP_2) | instskip(SKIP_1) | instid1(VALU_DEP_2)
	v_add_co_u32 v4, vcc_lo, v4, v11
	s_wait_alu 0xfffd
	v_add_co_ci_u32_e32 v9, vcc_lo, 0, v7, vcc_lo
	s_delay_alu instid0(VALU_DEP_2) | instskip(SKIP_1) | instid1(VALU_DEP_3)
	v_mul_lo_u32 v10, s21, v4
	v_mad_co_u64_u32 v[7:8], null, s20, v4, 0
	v_mul_lo_u32 v11, s20, v9
	s_delay_alu instid0(VALU_DEP_2) | instskip(NEXT) | instid1(VALU_DEP_2)
	v_sub_co_u32 v7, vcc_lo, v5, v7
	v_add3_u32 v8, v8, v11, v10
	s_delay_alu instid0(VALU_DEP_1) | instskip(SKIP_1) | instid1(VALU_DEP_1)
	v_sub_nc_u32_e32 v10, v6, v8
	s_wait_alu 0xfffd
	v_subrev_co_ci_u32_e64 v10, s2, s21, v10, vcc_lo
	v_add_co_u32 v11, s2, v4, 2
	s_wait_alu 0xf1ff
	v_add_co_ci_u32_e64 v12, s2, 0, v9, s2
	v_sub_co_u32 v13, s2, v7, s20
	v_sub_co_ci_u32_e32 v8, vcc_lo, v6, v8, vcc_lo
	s_wait_alu 0xf1ff
	v_subrev_co_ci_u32_e64 v10, s2, 0, v10, s2
	s_delay_alu instid0(VALU_DEP_3) | instskip(NEXT) | instid1(VALU_DEP_3)
	v_cmp_le_u32_e32 vcc_lo, s20, v13
	v_cmp_eq_u32_e64 s2, s21, v8
	s_wait_alu 0xfffd
	v_cndmask_b32_e64 v13, 0, -1, vcc_lo
	v_cmp_le_u32_e32 vcc_lo, s21, v10
	s_wait_alu 0xfffd
	v_cndmask_b32_e64 v14, 0, -1, vcc_lo
	v_cmp_le_u32_e32 vcc_lo, s20, v7
	;; [unrolled: 3-line block ×3, first 2 shown]
	s_wait_alu 0xfffd
	v_cndmask_b32_e64 v15, 0, -1, vcc_lo
	v_cmp_eq_u32_e32 vcc_lo, s21, v10
	s_wait_alu 0xf1ff
	s_delay_alu instid0(VALU_DEP_2)
	v_cndmask_b32_e64 v7, v15, v7, s2
	s_wait_alu 0xfffd
	v_cndmask_b32_e32 v10, v14, v13, vcc_lo
	v_add_co_u32 v13, vcc_lo, v4, 1
	s_wait_alu 0xfffd
	v_add_co_ci_u32_e32 v14, vcc_lo, 0, v9, vcc_lo
	s_delay_alu instid0(VALU_DEP_3) | instskip(SKIP_2) | instid1(VALU_DEP_3)
	v_cmp_ne_u32_e32 vcc_lo, 0, v10
	s_wait_alu 0xfffd
	v_cndmask_b32_e32 v10, v13, v11, vcc_lo
	v_cndmask_b32_e32 v8, v14, v12, vcc_lo
	v_cmp_ne_u32_e32 vcc_lo, 0, v7
	s_wait_alu 0xfffd
	s_delay_alu instid0(VALU_DEP_2)
	v_dual_cndmask_b32 v7, v4, v10 :: v_dual_cndmask_b32 v8, v9, v8
.LBB0_4:                                ;   in Loop: Header=BB0_2 Depth=1
	s_wait_alu 0xfffe
	s_and_not1_saveexec_b32 s2, s22
	s_cbranch_execz .LBB0_6
; %bb.5:                                ;   in Loop: Header=BB0_2 Depth=1
	v_cvt_f32_u32_e32 v4, s20
	s_sub_co_i32 s22, 0, s20
	s_delay_alu instid0(VALU_DEP_1) | instskip(NEXT) | instid1(TRANS32_DEP_1)
	v_rcp_iflag_f32_e32 v4, v4
	v_mul_f32_e32 v4, 0x4f7ffffe, v4
	s_delay_alu instid0(VALU_DEP_1) | instskip(SKIP_1) | instid1(VALU_DEP_1)
	v_cvt_u32_f32_e32 v4, v4
	s_wait_alu 0xfffe
	v_mul_lo_u32 v7, s22, v4
	s_delay_alu instid0(VALU_DEP_1) | instskip(NEXT) | instid1(VALU_DEP_1)
	v_mul_hi_u32 v7, v4, v7
	v_add_nc_u32_e32 v4, v4, v7
	s_delay_alu instid0(VALU_DEP_1) | instskip(NEXT) | instid1(VALU_DEP_1)
	v_mul_hi_u32 v4, v5, v4
	v_mul_lo_u32 v7, v4, s20
	v_add_nc_u32_e32 v8, 1, v4
	s_delay_alu instid0(VALU_DEP_2) | instskip(NEXT) | instid1(VALU_DEP_1)
	v_sub_nc_u32_e32 v7, v5, v7
	v_subrev_nc_u32_e32 v9, s20, v7
	v_cmp_le_u32_e32 vcc_lo, s20, v7
	s_wait_alu 0xfffd
	s_delay_alu instid0(VALU_DEP_2) | instskip(NEXT) | instid1(VALU_DEP_1)
	v_dual_cndmask_b32 v7, v7, v9 :: v_dual_cndmask_b32 v4, v4, v8
	v_cmp_le_u32_e32 vcc_lo, s20, v7
	s_delay_alu instid0(VALU_DEP_2) | instskip(SKIP_1) | instid1(VALU_DEP_1)
	v_add_nc_u32_e32 v8, 1, v4
	s_wait_alu 0xfffd
	v_dual_cndmask_b32 v7, v4, v8 :: v_dual_mov_b32 v8, v3
.LBB0_6:                                ;   in Loop: Header=BB0_2 Depth=1
	s_wait_alu 0xfffe
	s_or_b32 exec_lo, exec_lo, s2
	s_load_b64 s[22:23], s[14:15], 0x0
	s_delay_alu instid0(VALU_DEP_1)
	v_mul_lo_u32 v4, v8, s20
	v_mul_lo_u32 v11, v7, s21
	v_mad_co_u64_u32 v[9:10], null, v7, s20, 0
	s_add_nc_u64 s[16:17], s[16:17], 1
	s_add_nc_u64 s[14:15], s[14:15], 8
	s_wait_alu 0xfffe
	v_cmp_ge_u64_e64 s2, s[16:17], s[6:7]
	s_add_nc_u64 s[18:19], s[18:19], 8
	s_delay_alu instid0(VALU_DEP_2) | instskip(NEXT) | instid1(VALU_DEP_3)
	v_add3_u32 v4, v10, v11, v4
	v_sub_co_u32 v5, vcc_lo, v5, v9
	s_wait_alu 0xfffd
	s_delay_alu instid0(VALU_DEP_2) | instskip(SKIP_3) | instid1(VALU_DEP_2)
	v_sub_co_ci_u32_e32 v4, vcc_lo, v6, v4, vcc_lo
	s_and_b32 vcc_lo, exec_lo, s2
	s_wait_kmcnt 0x0
	v_mul_lo_u32 v6, s23, v5
	v_mul_lo_u32 v4, s22, v4
	v_mad_co_u64_u32 v[1:2], null, s22, v5, v[1:2]
	s_delay_alu instid0(VALU_DEP_1)
	v_add3_u32 v2, v6, v2, v4
	s_wait_alu 0xfffe
	s_cbranch_vccnz .LBB0_9
; %bb.7:                                ;   in Loop: Header=BB0_2 Depth=1
	v_dual_mov_b32 v5, v7 :: v_dual_mov_b32 v6, v8
	s_branch .LBB0_2
.LBB0_8:
	v_dual_mov_b32 v8, v6 :: v_dual_mov_b32 v7, v5
.LBB0_9:
	s_lshl_b64 s[2:3], s[6:7], 3
	v_mul_hi_u32 v3, 0x1f07c20, v0
	s_wait_alu 0xfffe
	s_add_nc_u64 s[2:3], s[12:13], s[2:3]
                                        ; implicit-def: $vgpr73
                                        ; implicit-def: $vgpr71
	s_load_b64 s[2:3], s[2:3], 0x0
	s_load_b64 s[0:1], s[0:1], 0x20
	s_delay_alu instid0(VALU_DEP_1) | instskip(NEXT) | instid1(VALU_DEP_1)
	v_mul_u32_u24_e32 v3, 0x84, v3
	v_sub_nc_u32_e32 v70, v0, v3
	s_delay_alu instid0(VALU_DEP_1)
	v_add_nc_u32_e32 v72, 0x84, v70
	v_add_nc_u32_e32 v77, 0x18c, v70
	s_wait_kmcnt 0x0
	v_mul_lo_u32 v4, s2, v8
	v_mul_lo_u32 v5, s3, v7
	v_mad_co_u64_u32 v[1:2], null, s2, v7, v[1:2]
	v_cmp_gt_u64_e32 vcc_lo, s[0:1], v[7:8]
	v_cmp_le_u64_e64 s0, s[0:1], v[7:8]
	s_delay_alu instid0(VALU_DEP_3) | instskip(NEXT) | instid1(VALU_DEP_2)
	v_add3_u32 v2, v5, v2, v4
	s_and_saveexec_b32 s1, s0
	s_wait_alu 0xfffe
	s_xor_b32 s0, exec_lo, s1
; %bb.10:
	v_add_nc_u32_e32 v73, 0x84, v70
	v_add_nc_u32_e32 v71, 0x108, v70
	;; [unrolled: 1-line block ×3, first 2 shown]
; %bb.11:
	s_wait_alu 0xfffe
	s_or_saveexec_b32 s1, s0
	v_lshlrev_b64_e32 v[56:57], 4, v[1:2]
                                        ; implicit-def: $vgpr26_vgpr27
                                        ; implicit-def: $vgpr30_vgpr31
                                        ; implicit-def: $vgpr18_vgpr19
                                        ; implicit-def: $vgpr34_vgpr35
                                        ; implicit-def: $vgpr10_vgpr11
                                        ; implicit-def: $vgpr6_vgpr7
                                        ; implicit-def: $vgpr14_vgpr15
                                        ; implicit-def: $vgpr38_vgpr39
                                        ; implicit-def: $vgpr42_vgpr43
                                        ; implicit-def: $vgpr22_vgpr23
                                        ; implicit-def: $vgpr2_vgpr3
	s_wait_alu 0xfffe
	s_xor_b32 exec_lo, exec_lo, s1
	s_cbranch_execz .LBB0_13
; %bb.12:
	v_mad_co_u64_u32 v[0:1], null, s8, v70, 0
	v_mad_co_u64_u32 v[2:3], null, s8, v72, 0
	v_add_nc_u32_e32 v71, 0x108, v70
	v_add_co_u32 v36, s0, s10, v56
	s_wait_alu 0xf1ff
	v_add_co_ci_u32_e64 v37, s0, s11, v57, s0
	s_delay_alu instid0(VALU_DEP_3) | instskip(SKIP_4) | instid1(VALU_DEP_3)
	v_mad_co_u64_u32 v[7:8], null, s8, v71, 0
	v_mad_co_u64_u32 v[4:5], null, s9, v70, v[1:2]
	v_dual_mov_b32 v1, v3 :: v_dual_add_nc_u32 v16, 0x210, v70
	v_mad_co_u64_u32 v[5:6], null, s8, v77, 0
	v_add_nc_u32_e32 v17, 0x294, v70
	v_mad_co_u64_u32 v[9:10], null, s9, v72, v[1:2]
	v_dual_mov_b32 v1, v4 :: v_dual_mov_b32 v4, v8
	v_mov_b32_e32 v73, v72
	v_mad_co_u64_u32 v[13:14], null, s9, v77, v[6:7]
	v_mad_co_u64_u32 v[14:15], null, s8, v17, 0
	v_mov_b32_e32 v3, v9
	v_mad_co_u64_u32 v[8:9], null, s9, v71, v[4:5]
	v_mad_co_u64_u32 v[9:10], null, s8, v16, 0
	v_mov_b32_e32 v6, v13
	s_delay_alu instid0(VALU_DEP_4) | instskip(SKIP_4) | instid1(VALU_DEP_4)
	v_lshlrev_b64_e32 v[2:3], 4, v[2:3]
	v_add_nc_u32_e32 v39, 0x528, v70
	v_lshlrev_b64_e32 v[7:8], 4, v[7:8]
	v_mov_b32_e32 v4, v10
	v_lshlrev_b64_e32 v[0:1], 4, v[0:1]
	v_mad_co_u64_u32 v[34:35], null, s8, v39, 0
	s_delay_alu instid0(VALU_DEP_2) | instskip(SKIP_1) | instid1(VALU_DEP_3)
	v_add_co_u32 v0, s0, v36, v0
	s_wait_alu 0xf1ff
	v_add_co_ci_u32_e64 v1, s0, v37, v1, s0
	v_add_co_u32 v11, s0, v36, v2
	s_wait_alu 0xf1ff
	v_add_co_ci_u32_e64 v12, s0, v37, v3, s0
	s_clause 0x1
	global_load_b128 v[0:3], v[0:1], off
	global_load_b128 v[24:27], v[11:12], off
	v_mad_co_u64_u32 v[10:11], null, s9, v16, v[4:5]
	v_lshlrev_b64_e32 v[5:6], 4, v[5:6]
	v_mov_b32_e32 v4, v15
	v_add_co_u32 v7, s0, v36, v7
	s_wait_alu 0xf1ff
	v_add_co_ci_u32_e64 v8, s0, v37, v8, s0
	s_delay_alu instid0(VALU_DEP_3)
	v_mad_co_u64_u32 v[11:12], null, s9, v17, v[4:5]
	v_add_nc_u32_e32 v16, 0x318, v70
	v_add_co_u32 v4, s0, v36, v5
	s_wait_alu 0xf1ff
	v_add_co_ci_u32_e64 v5, s0, v37, v6, s0
	v_lshlrev_b64_e32 v[9:10], 4, v[9:10]
	v_mov_b32_e32 v15, v11
	v_mad_co_u64_u32 v[12:13], null, s8, v16, 0
	s_clause 0x1
	global_load_b128 v[28:31], v[7:8], off
	global_load_b128 v[20:23], v[4:5], off
	v_add_nc_u32_e32 v17, 0x39c, v70
	v_lshlrev_b64_e32 v[7:8], 4, v[14:15]
	v_add_co_u32 v4, s0, v36, v9
	s_wait_alu 0xf1ff
	v_add_co_ci_u32_e64 v5, s0, v37, v10, s0
	v_mov_b32_e32 v6, v13
	s_delay_alu instid0(VALU_DEP_1)
	v_mad_co_u64_u32 v[9:10], null, s9, v16, v[6:7]
	v_add_nc_u32_e32 v18, 0x420, v70
	v_mad_co_u64_u32 v[10:11], null, s8, v17, 0
	v_add_co_u32 v6, s0, v36, v7
	s_wait_alu 0xf1ff
	v_add_co_ci_u32_e64 v7, s0, v37, v8, s0
	v_mov_b32_e32 v13, v9
	v_mad_co_u64_u32 v[14:15], null, s8, v18, 0
	v_add_nc_u32_e32 v38, 0x4a4, v70
	s_delay_alu instid0(VALU_DEP_2) | instskip(NEXT) | instid1(VALU_DEP_2)
	v_dual_mov_b32 v8, v11 :: v_dual_mov_b32 v9, v15
	v_mad_co_u64_u32 v[32:33], null, s8, v38, 0
	s_delay_alu instid0(VALU_DEP_2)
	v_mad_co_u64_u32 v[15:16], null, s9, v17, v[8:9]
	v_mad_co_u64_u32 v[8:9], null, s9, v18, v[9:10]
	s_clause 0x1
	global_load_b128 v[40:43], v[4:5], off
	global_load_b128 v[16:19], v[6:7], off
	v_lshlrev_b64_e32 v[5:6], 4, v[12:13]
	v_dual_mov_b32 v4, v33 :: v_dual_mov_b32 v11, v15
	v_mov_b32_e32 v15, v8
	s_delay_alu instid0(VALU_DEP_2)
	v_mad_co_u64_u32 v[7:8], null, s9, v38, v[4:5]
	v_mov_b32_e32 v4, v35
	v_add_co_u32 v5, s0, v36, v5
	v_lshlrev_b64_e32 v[8:9], 4, v[10:11]
	s_wait_alu 0xf1ff
	v_add_co_ci_u32_e64 v6, s0, v37, v6, s0
	s_delay_alu instid0(VALU_DEP_3)
	v_mad_co_u64_u32 v[10:11], null, s9, v39, v[4:5]
	v_lshlrev_b64_e32 v[11:12], 4, v[14:15]
	v_mov_b32_e32 v33, v7
	v_add_co_u32 v7, s0, v36, v8
	s_wait_alu 0xf1ff
	v_add_co_ci_u32_e64 v8, s0, v37, v9, s0
	v_mov_b32_e32 v35, v10
	v_lshlrev_b64_e32 v[13:14], 4, v[32:33]
	v_add_co_u32 v9, s0, v36, v11
	s_wait_alu 0xf1ff
	v_add_co_ci_u32_e64 v10, s0, v37, v12, s0
	v_lshlrev_b64_e32 v[11:12], 4, v[34:35]
	s_delay_alu instid0(VALU_DEP_4) | instskip(SKIP_2) | instid1(VALU_DEP_3)
	v_add_co_u32 v44, s0, v36, v13
	s_wait_alu 0xf1ff
	v_add_co_ci_u32_e64 v45, s0, v37, v14, s0
	v_add_co_u32 v46, s0, v36, v11
	s_wait_alu 0xf1ff
	v_add_co_ci_u32_e64 v47, s0, v37, v12, s0
	s_clause 0x4
	global_load_b128 v[32:35], v[5:6], off
	global_load_b128 v[36:39], v[7:8], off
	;; [unrolled: 1-line block ×5, first 2 shown]
.LBB0_13:
	s_or_b32 exec_lo, exec_lo, s1
	s_wait_loadcnt 0x9
	v_add_f64_e32 v[44:45], v[24:25], v[0:1]
	s_wait_loadcnt 0x0
	v_add_f64_e64 v[46:47], v[26:27], -v[6:7]
	s_mov_b32 s28, 0xf8bb580b
	s_mov_b32 s36, 0x8eee2c13
	;; [unrolled: 1-line block ×9, first 2 shown]
	v_add_f64_e64 v[48:49], v[30:31], -v[10:11]
	v_add_f64_e32 v[50:51], v[24:25], v[4:5]
	s_mov_b32 s19, 0xbfefac9e
	s_mov_b32 s12, 0x8764f0ba
	;; [unrolled: 1-line block ×11, first 2 shown]
	s_wait_alu 0xfffe
	s_mov_b32 s34, s22
	s_mov_b32 s30, s18
	;; [unrolled: 1-line block ×5, first 2 shown]
	v_add_f64_e64 v[62:63], v[22:23], -v[14:15]
	v_add_f64_e32 v[64:65], v[28:29], v[8:9]
	s_mov_b32 s3, 0xbfc2375f
	s_mov_b32 s27, 0x3fed1bb4
	;; [unrolled: 1-line block ×3, first 2 shown]
	v_add_f64_e64 v[90:91], v[42:43], -v[38:39]
	v_cmp_gt_u32_e64 s0, 0x58, v70
	v_add_f64_e32 v[44:45], v[28:29], v[44:45]
	v_mul_f64_e32 v[52:53], s[28:29], v[46:47]
	v_mul_f64_e32 v[54:55], s[36:37], v[46:47]
	;; [unrolled: 1-line block ×9, first 2 shown]
	s_wait_alu 0xfffe
	v_mul_f64_e32 v[48:49], s[24:25], v[48:49]
	v_mul_f64_e32 v[92:93], s[18:19], v[62:63]
	;; [unrolled: 1-line block ×10, first 2 shown]
	v_add_f64_e32 v[44:45], v[20:21], v[44:45]
	v_fma_f64 v[80:81], v[50:51], s[12:13], v[52:53]
	v_fma_f64 v[52:53], v[50:51], s[12:13], -v[52:53]
	v_fma_f64 v[82:83], v[50:51], s[6:7], -v[54:55]
	v_fma_f64 v[84:85], v[50:51], s[14:15], v[58:59]
	v_fma_f64 v[86:87], v[50:51], s[16:17], v[60:61]
	v_fma_f64 v[58:59], v[50:51], s[14:15], -v[58:59]
	v_fma_f64 v[60:61], v[50:51], s[16:17], -v[60:61]
	v_fma_f64 v[88:89], v[50:51], s[2:3], -v[46:47]
	v_fma_f64 v[54:55], v[50:51], s[6:7], v[54:55]
	v_fma_f64 v[46:47], v[50:51], s[2:3], v[46:47]
	v_add_f64_e32 v[50:51], v[12:13], v[20:21]
	v_fma_f64 v[100:101], v[64:65], s[6:7], v[66:67]
	v_fma_f64 v[66:67], v[64:65], s[6:7], -v[66:67]
	v_fma_f64 v[102:103], v[64:65], s[14:15], v[68:69]
	v_fma_f64 v[68:69], v[64:65], s[14:15], -v[68:69]
	;; [unrolled: 2-line block ×5, first 2 shown]
	v_mul_f64_e32 v[90:91], s[26:27], v[90:91]
	v_add_f64_e32 v[44:45], v[40:41], v[44:45]
	v_add_f64_e32 v[64:65], v[80:81], v[0:1]
	;; [unrolled: 1-line block ×12, first 2 shown]
	v_add_f64_e64 v[88:89], v[18:19], -v[34:35]
	v_fma_f64 v[118:119], v[50:51], s[2:3], v[92:93]
	v_fma_f64 v[92:93], v[50:51], s[2:3], -v[92:93]
	v_fma_f64 v[120:121], v[50:51], s[16:17], v[94:95]
	v_fma_f64 v[94:95], v[50:51], s[16:17], -v[94:95]
	;; [unrolled: 2-line block ×5, first 2 shown]
	v_add_f64_e32 v[44:45], v[16:17], v[44:45]
	v_add_f64_e32 v[62:63], v[100:101], v[64:65]
	;; [unrolled: 1-line block ×12, first 2 shown]
	v_mul_f64_e32 v[78:79], s[22:23], v[88:89]
	v_mul_f64_e32 v[80:81], s[24:25], v[88:89]
	;; [unrolled: 1-line block ×5, first 2 shown]
	v_fma_f64 v[88:89], v[46:47], s[14:15], v[110:111]
	v_fma_f64 v[100:101], v[46:47], s[14:15], -v[110:111]
	v_fma_f64 v[104:105], v[46:47], s[2:3], -v[112:113]
	v_fma_f64 v[106:107], v[46:47], s[12:13], v[114:115]
	v_fma_f64 v[108:109], v[46:47], s[12:13], -v[114:115]
	v_fma_f64 v[110:111], v[46:47], s[16:17], v[116:117]
	v_fma_f64 v[114:115], v[46:47], s[6:7], v[90:91]
	;; [unrolled: 1-line block ×3, first 2 shown]
	v_fma_f64 v[112:113], v[46:47], s[16:17], -v[116:117]
	v_fma_f64 v[46:47], v[46:47], s[6:7], -v[90:91]
	v_add_f64_e32 v[44:45], v[32:33], v[44:45]
	v_add_f64_e32 v[62:63], v[118:119], v[62:63]
	;; [unrolled: 1-line block ×11, first 2 shown]
	v_fma_f64 v[60:61], v[74:75], s[16:17], v[78:79]
	v_fma_f64 v[78:79], v[74:75], s[16:17], -v[78:79]
	v_fma_f64 v[90:91], v[74:75], s[12:13], v[80:81]
	v_fma_f64 v[80:81], v[74:75], s[12:13], -v[80:81]
	v_fma_f64 v[94:95], v[74:75], s[6:7], v[84:85]
	v_fma_f64 v[96:97], v[74:75], s[2:3], v[86:87]
	;; [unrolled: 1-line block ×3, first 2 shown]
	v_fma_f64 v[82:83], v[74:75], s[14:15], -v[82:83]
	v_fma_f64 v[84:85], v[74:75], s[6:7], -v[84:85]
	;; [unrolled: 1-line block ×3, first 2 shown]
	v_add_f64_e32 v[44:45], v[36:37], v[44:45]
	v_add_f64_e32 v[62:63], v[88:89], v[62:63]
	;; [unrolled: 1-line block ×22, first 2 shown]
	v_mad_u32_u24 v0, 0x58, v70, 0
	v_lshl_add_u32 v75, v73, 3, 0
	v_lshl_add_u32 v74, v71, 3, 0
	;; [unrolled: 1-line block ×3, first 2 shown]
	s_delay_alu instid0(VALU_DEP_4) | instskip(NEXT) | instid1(VALU_DEP_1)
	v_mad_i32_i24 v1, 0xffffffb0, v70, v0
	v_add_nc_u32_e32 v68, 0xc00, v1
	v_add_nc_u32_e32 v69, 0x1700, v1
	;; [unrolled: 1-line block ×3, first 2 shown]
	v_add_f64_e32 v[44:45], v[8:9], v[44:45]
	s_delay_alu instid0(VALU_DEP_1)
	v_add_f64_e32 v[44:45], v[4:5], v[44:45]
	ds_store_2addr_b64 v0, v[52:53], v[64:65] offset0:4 offset1:5
	ds_store_2addr_b64 v0, v[46:47], v[62:63] offset0:6 offset1:7
	;; [unrolled: 1-line block ×3, first 2 shown]
	ds_store_b64 v0, v[60:61] offset:80
	ds_store_2addr_b64 v0, v[50:51], v[66:67] offset0:2 offset1:3
	ds_store_2addr_b64 v0, v[44:45], v[54:55] offset1:1
	global_wb scope:SCOPE_SE
	s_wait_dscnt 0x0
	s_barrier_signal -1
	s_barrier_wait -1
	global_inv scope:SCOPE_SE
	ds_load_2addr_b64 v[48:51], v68 offset0:100 offset1:232
	ds_load_2addr_b64 v[44:47], v69 offset0:12 offset1:232
	ds_load_b64 v[62:63], v75
	ds_load_2addr_b64 v[52:55], v76 offset0:76 offset1:208
	ds_load_b64 v[66:67], v1
	ds_load_b64 v[64:65], v74
	v_mul_i32_i24_e32 v1, 0xffffffb0, v70
                                        ; implicit-def: $vgpr68_vgpr69
	s_delay_alu instid0(VALU_DEP_1)
	v_add_nc_u32_e32 v76, v0, v1
	s_and_saveexec_b32 s1, s0
	s_cbranch_execz .LBB0_15
; %bb.14:
	ds_load_b64 v[60:61], v76 offset:7040
	ds_load_b64 v[58:59], v78
	ds_load_b64 v[68:69], v76 offset:10912
.LBB0_15:
	s_wait_alu 0xfffe
	s_or_b32 exec_lo, exec_lo, s1
	v_add_f64_e32 v[79:80], v[26:27], v[2:3]
	v_add_f64_e64 v[4:5], v[24:25], -v[4:5]
	v_add_f64_e64 v[8:9], v[28:29], -v[8:9]
	v_add_f64_e32 v[26:27], v[26:27], v[6:7]
	v_add_f64_e64 v[12:13], v[20:21], -v[12:13]
	v_add_f64_e32 v[20:21], v[30:31], v[10:11]
	v_add_f64_e64 v[16:17], v[16:17], -v[32:33]
	global_wb scope:SCOPE_SE
	s_wait_dscnt 0x0
	s_barrier_signal -1
	s_barrier_wait -1
	global_inv scope:SCOPE_SE
	v_add_f64_e32 v[79:80], v[30:31], v[79:80]
	v_mul_f64_e32 v[28:29], s[28:29], v[4:5]
	v_mul_f64_e32 v[81:82], s[20:21], v[4:5]
	;; [unrolled: 1-line block ×10, first 2 shown]
	v_add_f64_e32 v[24:25], v[22:23], v[79:80]
	v_mul_f64_e32 v[79:80], s[36:37], v[4:5]
	v_mul_f64_e32 v[4:5], s[18:19], v[4:5]
	v_fma_f64 v[91:92], v[26:27], s[12:13], -v[28:29]
	v_fma_f64 v[28:29], v[26:27], s[12:13], v[28:29]
	v_fma_f64 v[95:96], v[26:27], s[14:15], -v[81:82]
	v_fma_f64 v[81:82], v[26:27], s[14:15], v[81:82]
	v_fma_f64 v[97:98], v[26:27], s[16:17], -v[83:84]
	v_fma_f64 v[83:84], v[26:27], s[16:17], v[83:84]
	v_add_f64_e32 v[22:23], v[14:15], v[22:23]
	v_fma_f64 v[105:106], v[20:21], s[6:7], -v[30:31]
	v_fma_f64 v[30:31], v[20:21], s[6:7], v[30:31]
	v_fma_f64 v[107:108], v[20:21], s[14:15], -v[85:86]
	v_fma_f64 v[85:86], v[20:21], s[14:15], v[85:86]
	;; [unrolled: 2-line block ×5, first 2 shown]
	v_add_f64_e32 v[24:25], v[42:43], v[24:25]
	v_fma_f64 v[93:94], v[26:27], s[6:7], v[79:80]
	v_fma_f64 v[99:100], v[26:27], s[2:3], v[4:5]
	v_fma_f64 v[79:80], v[26:27], s[6:7], -v[79:80]
	v_fma_f64 v[4:5], v[26:27], s[2:3], -v[4:5]
	v_add_f64_e64 v[26:27], v[40:41], -v[36:37]
	v_mul_f64_e32 v[36:37], s[18:19], v[12:13]
	v_mul_f64_e32 v[40:41], s[34:35], v[12:13]
	v_mul_f64_e32 v[12:13], s[20:21], v[12:13]
	v_add_f64_e32 v[20:21], v[91:92], v[2:3]
	v_add_f64_e32 v[28:29], v[28:29], v[2:3]
	;; [unrolled: 1-line block ×4, first 2 shown]
	v_fma_f64 v[121:122], v[22:23], s[6:7], -v[101:102]
	v_fma_f64 v[101:102], v[22:23], s[6:7], v[101:102]
	v_fma_f64 v[123:124], v[22:23], s[12:13], -v[103:104]
	v_fma_f64 v[103:104], v[22:23], s[12:13], v[103:104]
	v_add_f64_e32 v[24:25], v[18:19], v[24:25]
	v_add_f64_e32 v[91:92], v[93:94], v[2:3]
	v_add_f64_e32 v[93:94], v[95:96], v[2:3]
	v_add_f64_e32 v[95:96], v[97:98], v[2:3]
	v_add_f64_e32 v[97:98], v[99:100], v[2:3]
	v_add_f64_e32 v[79:80], v[79:80], v[2:3]
	v_add_f64_e32 v[1:2], v[4:5], v[2:3]
	v_add_f64_e32 v[3:4], v[38:39], v[42:43]
	v_mul_f64_e32 v[32:33], s[20:21], v[26:27]
	v_mul_f64_e32 v[42:43], s[30:31], v[26:27]
	;; [unrolled: 1-line block ×5, first 2 shown]
	v_fma_f64 v[117:118], v[22:23], s[2:3], -v[36:37]
	v_fma_f64 v[36:37], v[22:23], s[2:3], v[36:37]
	v_fma_f64 v[119:120], v[22:23], s[16:17], -v[40:41]
	v_fma_f64 v[40:41], v[22:23], s[16:17], v[40:41]
	;; [unrolled: 2-line block ×3, first 2 shown]
	v_add_f64_e32 v[20:21], v[105:106], v[20:21]
	v_add_f64_e32 v[22:23], v[30:31], v[28:29]
	v_add_f64_e32 v[81:82], v[89:90], v[81:82]
	v_add_f64_e32 v[8:9], v[8:9], v[83:84]
	v_add_f64_e32 v[18:19], v[18:19], v[34:35]
	v_mul_f64_e32 v[89:90], s[26:27], v[16:17]
	v_add_f64_e32 v[24:25], v[34:35], v[24:25]
	v_add_f64_e32 v[28:29], v[85:86], v[91:92]
	;; [unrolled: 1-line block ×7, first 2 shown]
	v_mul_f64_e32 v[34:35], s[22:23], v[16:17]
	v_mul_f64_e32 v[87:88], s[20:21], v[16:17]
	v_fma_f64 v[91:92], v[3:4], s[14:15], -v[32:33]
	v_fma_f64 v[32:33], v[3:4], s[14:15], v[32:33]
	v_fma_f64 v[93:94], v[3:4], s[2:3], -v[42:43]
	v_fma_f64 v[42:43], v[3:4], s[2:3], v[42:43]
	;; [unrolled: 2-line block ×5, first 2 shown]
	v_add_f64_e32 v[20:21], v[117:118], v[20:21]
	v_add_f64_e32 v[22:23], v[36:37], v[22:23]
	;; [unrolled: 1-line block ×4, first 2 shown]
	v_mul_f64_e32 v[38:39], s[24:25], v[16:17]
	v_mul_f64_e32 v[16:17], s[18:19], v[16:17]
	v_add_f64_e32 v[26:27], v[40:41], v[28:29]
	v_add_f64_e32 v[28:29], v[123:124], v[30:31]
	;; [unrolled: 1-line block ×7, first 2 shown]
	v_fma_f64 v[81:82], v[18:19], s[14:15], -v[87:88]
	v_fma_f64 v[83:84], v[18:19], s[14:15], v[87:88]
	v_fma_f64 v[85:86], v[18:19], s[6:7], -v[89:90]
	v_fma_f64 v[87:88], v[18:19], s[6:7], v[89:90]
	v_add_f64_e32 v[3:4], v[3:4], v[8:9]
	v_add_f64_e32 v[14:15], v[14:15], v[24:25]
	v_fma_f64 v[24:25], v[18:19], s[16:17], -v[34:35]
	v_fma_f64 v[34:35], v[18:19], s[16:17], v[34:35]
	v_fma_f64 v[79:80], v[18:19], s[12:13], -v[38:39]
	v_fma_f64 v[38:39], v[18:19], s[12:13], v[38:39]
	;; [unrolled: 2-line block ×3, first 2 shown]
	v_add_f64_e32 v[18:19], v[91:92], v[20:21]
	v_add_f64_e32 v[20:21], v[32:33], v[22:23]
	;; [unrolled: 1-line block ×20, first 2 shown]
	v_add_nc_u32_e32 v26, 0x2000, v76
	v_add_f64_e32 v[5:6], v[6:7], v[10:11]
	v_add_nc_u32_e32 v7, 0xc00, v76
	v_add_nc_u32_e32 v10, 0x1700, v76
	ds_store_2addr_b64 v0, v[18:19], v[24:25] offset0:4 offset1:5
	ds_store_2addr_b64 v0, v[3:4], v[22:23] offset0:6 offset1:7
	;; [unrolled: 1-line block ×3, first 2 shown]
	ds_store_b64 v0, v[20:21] offset:80
	ds_store_2addr_b64 v0, v[5:6], v[14:15] offset1:1
	ds_store_2addr_b64 v0, v[16:17], v[1:2] offset0:2 offset1:3
	global_wb scope:SCOPE_SE
	s_wait_dscnt 0x0
	s_barrier_signal -1
	s_barrier_wait -1
	global_inv scope:SCOPE_SE
	ds_load_2addr_b64 v[4:7], v7 offset0:100 offset1:232
	ds_load_2addr_b64 v[8:11], v10 offset0:12 offset1:232
	ds_load_b64 v[14:15], v75
	ds_load_2addr_b64 v[0:3], v26 offset0:76 offset1:208
	ds_load_b64 v[18:19], v76
	ds_load_b64 v[16:17], v74
                                        ; implicit-def: $vgpr22_vgpr23
	s_and_saveexec_b32 s1, s0
	s_cbranch_execz .LBB0_17
; %bb.16:
	ds_load_b64 v[20:21], v76 offset:7040
	ds_load_b64 v[12:13], v78
	ds_load_b64 v[22:23], v76 offset:10912
.LBB0_17:
	s_wait_alu 0xfffe
	s_or_b32 exec_lo, exec_lo, s1
	v_and_b32_e32 v79, 0xff, v70
	v_and_b32_e32 v26, 0xffff, v73
	;; [unrolled: 1-line block ×3, first 2 shown]
	s_mov_b32 s6, 0xe8584caa
	s_mov_b32 s7, 0xbfebb67a
	v_mul_lo_u16 v24, 0x75, v79
	v_mul_u32_u24_e32 v26, 0xba2f, v26
	v_mul_u32_u24_e32 v27, 0xba2f, v27
	s_mov_b32 s3, 0x3febb67a
	s_wait_alu 0xfffe
	s_mov_b32 s2, s6
	v_lshrrev_b16 v24, 8, v24
	v_lshrrev_b32_e32 v117, 19, v26
	v_lshrrev_b32_e32 v118, 19, v27
	s_delay_alu instid0(VALU_DEP_3) | instskip(NEXT) | instid1(VALU_DEP_2)
	v_sub_nc_u16 v25, v70, v24
	v_mul_lo_u16 v26, v118, 11
	s_delay_alu instid0(VALU_DEP_2) | instskip(NEXT) | instid1(VALU_DEP_2)
	v_lshrrev_b16 v25, 1, v25
	v_sub_nc_u16 v26, v71, v26
	s_delay_alu instid0(VALU_DEP_2) | instskip(NEXT) | instid1(VALU_DEP_2)
	v_and_b32_e32 v25, 0x7f, v25
	v_and_b32_e32 v121, 0xffff, v26
	s_delay_alu instid0(VALU_DEP_2) | instskip(SKIP_1) | instid1(VALU_DEP_3)
	v_add_nc_u16 v24, v25, v24
	v_and_b32_e32 v25, 0xffff, v77
	v_lshlrev_b32_e32 v34, 5, v121
	s_delay_alu instid0(VALU_DEP_3) | instskip(NEXT) | instid1(VALU_DEP_3)
	v_lshrrev_b16 v116, 3, v24
	v_mul_u32_u24_e32 v24, 0xba2f, v25
	s_delay_alu instid0(VALU_DEP_2) | instskip(NEXT) | instid1(VALU_DEP_2)
	v_mul_lo_u16 v25, v116, 11
	v_lshrrev_b32_e32 v119, 19, v24
	v_mul_lo_u16 v24, v117, 11
	s_delay_alu instid0(VALU_DEP_3) | instskip(NEXT) | instid1(VALU_DEP_3)
	v_sub_nc_u16 v25, v70, v25
	v_mul_lo_u16 v27, v119, 11
	s_delay_alu instid0(VALU_DEP_3) | instskip(NEXT) | instid1(VALU_DEP_3)
	v_sub_nc_u16 v24, v73, v24
	v_and_b32_e32 v120, 0xff, v25
	s_delay_alu instid0(VALU_DEP_3) | instskip(NEXT) | instid1(VALU_DEP_3)
	v_sub_nc_u16 v25, v77, v27
	v_and_b32_e32 v77, 0xffff, v24
	s_delay_alu instid0(VALU_DEP_3) | instskip(NEXT) | instid1(VALU_DEP_3)
	v_lshlrev_b32_e32 v28, 5, v120
	v_and_b32_e32 v122, 0xffff, v25
	s_delay_alu instid0(VALU_DEP_3)
	v_lshlrev_b32_e32 v29, 5, v77
	s_clause 0x1
	global_load_b128 v[24:27], v28, s[4:5] offset:16
	global_load_b128 v[30:33], v28, s[4:5]
	v_lshlrev_b32_e32 v28, 5, v122
	s_clause 0x5
	global_load_b128 v[80:83], v29, s[4:5]
	global_load_b128 v[84:87], v29, s[4:5] offset:16
	global_load_b128 v[88:91], v34, s[4:5]
	global_load_b128 v[92:95], v34, s[4:5] offset:16
	;; [unrolled: 2-line block ×3, first 2 shown]
	global_wb scope:SCOPE_SE
	s_wait_loadcnt_dscnt 0x0
	s_barrier_signal -1
	s_barrier_wait -1
	global_inv scope:SCOPE_SE
	v_mul_f64_e32 v[36:37], v[6:7], v[82:83]
	v_mul_f64_e32 v[38:39], v[0:1], v[86:87]
	;; [unrolled: 1-line block ×16, first 2 shown]
	v_fma_f64 v[42:43], v[46:47], v[24:25], v[34:35]
	v_fma_f64 v[40:41], v[48:49], v[30:31], v[28:29]
	;; [unrolled: 1-line block ×8, first 2 shown]
	v_fma_f64 v[6:7], v[6:7], v[80:81], -v[82:83]
	v_fma_f64 v[0:1], v[0:1], v[84:85], -v[86:87]
	;; [unrolled: 1-line block ×8, first 2 shown]
	v_add_f64_e32 v[10:11], v[40:41], v[42:43]
	v_add_f64_e32 v[52:53], v[66:67], v[40:41]
	;; [unrolled: 1-line block ×7, first 2 shown]
	v_add_f64_e64 v[54:55], v[44:45], -v[4:5]
	v_fma_f64 v[60:61], v[10:11], -0.5, v[66:67]
	v_add_f64_e64 v[66:67], v[6:7], -v[0:1]
	v_fma_f64 v[24:25], v[24:25], -0.5, v[62:63]
	;; [unrolled: 2-line block ×4, first 2 shown]
	v_add_f64_e32 v[80:81], v[50:51], v[38:39]
	v_add_f64_e32 v[51:52], v[52:53], v[42:43]
	;; [unrolled: 1-line block ×3, first 2 shown]
	v_and_b32_e32 v46, 0xffff, v116
	v_mul_u32_u24_e32 v48, 0x108, v117
	v_mul_u32_u24_e32 v50, 0x108, v118
	v_lshlrev_b32_e32 v49, 3, v77
	v_mul_lo_u16 v47, v119, 33
	s_delay_alu instid0(VALU_DEP_2)
	v_add3_u32 v49, 0, v48, v49
	v_fma_f64 v[82:83], v[54:55], s[6:7], v[60:61]
	s_wait_alu 0xfffe
	v_fma_f64 v[53:54], v[54:55], s[2:3], v[60:61]
	v_fma_f64 v[60:61], v[66:67], s[6:7], v[24:25]
	v_fma_f64 v[66:67], v[66:67], s[2:3], v[24:25]
	v_fma_f64 v[84:85], v[62:63], s[6:7], v[64:65]
	v_fma_f64 v[62:63], v[62:63], s[2:3], v[64:65]
	v_fma_f64 v[24:25], v[20:21], s[2:3], v[10:11]
	v_lshlrev_b32_e32 v55, 3, v121
	v_mul_u32_u24_e32 v64, 0x108, v46
	v_lshlrev_b32_e32 v65, 3, v120
	v_lshlrev_b32_e32 v46, 3, v122
	s_delay_alu instid0(VALU_DEP_4) | instskip(NEXT) | instid1(VALU_DEP_3)
	v_add3_u32 v48, 0, v50, v55
	v_add3_u32 v50, 0, v64, v65
	ds_store_2addr_b64 v50, v[51:52], v[82:83] offset1:11
	ds_store_b64 v50, v[53:54] offset:176
	ds_store_2addr_b64 v49, v[68:69], v[60:61] offset1:11
	ds_store_b64 v49, v[66:67] offset:176
	;; [unrolled: 2-line block ×3, first 2 shown]
	s_and_saveexec_b32 s1, s0
	s_cbranch_execz .LBB0_19
; %bb.18:
	v_mul_f64_e32 v[20:21], s[2:3], v[20:21]
	v_add_f64_e32 v[51:52], v[58:59], v[26:27]
	s_delay_alu instid0(VALU_DEP_2) | instskip(NEXT) | instid1(VALU_DEP_2)
	v_add_f64_e64 v[10:11], v[10:11], -v[20:21]
	v_add_f64_e32 v[20:21], v[51:52], v[34:35]
	v_and_b32_e32 v51, 0xffff, v47
	s_delay_alu instid0(VALU_DEP_1) | instskip(NEXT) | instid1(VALU_DEP_1)
	v_lshlrev_b32_e32 v51, 3, v51
	v_add3_u32 v51, 0, v46, v51
	ds_store_2addr_b64 v51, v[20:21], v[10:11] offset1:11
	ds_store_b64 v51, v[24:25] offset:176
.LBB0_19:
	s_wait_alu 0xfffe
	s_or_b32 exec_lo, exec_lo, s1
	v_add_f64_e32 v[10:11], v[44:45], v[4:5]
	v_add_f64_e32 v[20:21], v[6:7], v[0:1]
	;; [unrolled: 1-line block ×5, first 2 shown]
	v_add_f64_e64 v[40:41], v[40:41], -v[42:43]
	v_add_f64_e32 v[6:7], v[14:15], v[6:7]
	v_add_f64_e64 v[34:35], v[26:27], -v[34:35]
	v_add_f64_e32 v[8:9], v[16:17], v[8:9]
	global_wb scope:SCOPE_SE
	s_wait_dscnt 0x0
	s_barrier_signal -1
	s_barrier_wait -1
	global_inv scope:SCOPE_SE
	v_fma_f64 v[10:11], v[10:11], -0.5, v[18:19]
	v_fma_f64 v[14:15], v[20:21], -0.5, v[14:15]
	v_add_f64_e64 v[20:21], v[32:33], -v[38:39]
	v_fma_f64 v[32:33], v[53:54], -0.5, v[12:13]
	v_add_f64_e64 v[18:19], v[28:29], -v[36:37]
	v_fma_f64 v[16:17], v[51:52], -0.5, v[16:17]
	v_add_f64_e32 v[42:43], v[44:45], v[4:5]
	v_add_f64_e32 v[44:45], v[6:7], v[0:1]
	;; [unrolled: 1-line block ×3, first 2 shown]
	v_add_nc_u32_e32 v38, 0x1000, v76
	v_add_nc_u32_e32 v37, 0x1800, v76
	;; [unrolled: 1-line block ×3, first 2 shown]
	v_fma_f64 v[53:54], v[40:41], s[2:3], v[10:11]
	v_fma_f64 v[39:40], v[40:41], s[6:7], v[10:11]
	;; [unrolled: 1-line block ×7, first 2 shown]
	ds_load_b64 v[20:21], v75
	ds_load_b64 v[16:17], v76 offset:10560
	ds_load_b64 v[28:29], v76
	ds_load_b64 v[18:19], v74
	;; [unrolled: 1-line block ×3, first 2 shown]
	ds_load_2addr_b64 v[8:11], v38 offset0:16 offset1:148
	ds_load_2addr_b64 v[0:3], v37 offset0:24 offset1:156
	;; [unrolled: 1-line block ×3, first 2 shown]
	global_wb scope:SCOPE_SE
	s_wait_dscnt 0x0
	s_barrier_signal -1
	s_barrier_wait -1
	global_inv scope:SCOPE_SE
	ds_store_2addr_b64 v50, v[42:43], v[53:54] offset1:11
	ds_store_b64 v50, v[39:40] offset:176
	ds_store_2addr_b64 v49, v[44:45], v[58:59] offset1:11
	ds_store_b64 v49, v[60:61] offset:176
	;; [unrolled: 2-line block ×3, first 2 shown]
	s_and_saveexec_b32 s1, s0
	s_cbranch_execz .LBB0_21
; %bb.20:
	v_add_f64_e32 v[12:13], v[12:13], v[30:31]
	v_mul_f64_e32 v[30:31], s[2:3], v[34:35]
	s_delay_alu instid0(VALU_DEP_2) | instskip(NEXT) | instid1(VALU_DEP_2)
	v_add_f64_e32 v[12:13], v[12:13], v[22:23]
	v_add_f64_e32 v[22:23], v[30:31], v[32:33]
	v_and_b32_e32 v30, 0xffff, v47
	s_delay_alu instid0(VALU_DEP_1) | instskip(NEXT) | instid1(VALU_DEP_1)
	v_lshlrev_b32_e32 v30, 3, v30
	v_add3_u32 v30, 0, v46, v30
	ds_store_2addr_b64 v30, v[12:13], v[22:23] offset1:11
	ds_store_b64 v30, v[26:27] offset:176
.LBB0_21:
	s_wait_alu 0xfffe
	s_or_b32 exec_lo, exec_lo, s1
	v_mul_lo_u16 v12, 0xf9, v79
	global_wb scope:SCOPE_SE
	s_wait_dscnt 0x0
	s_barrier_signal -1
	s_barrier_wait -1
	global_inv scope:SCOPE_SE
	v_lshrrev_b16 v34, 13, v12
	s_mov_b32 s12, 0x8eee2c13
	s_mov_b32 s6, 0x43842ef
	;; [unrolled: 1-line block ×4, first 2 shown]
	v_mul_lo_u16 v12, v34, 33
	s_mov_b32 s7, 0xbfefac9e
	s_mov_b32 s14, 0xbb3a28a1
	;; [unrolled: 1-line block ×4, first 2 shown]
	v_sub_nc_u16 v12, v70, v12
	s_mov_b32 s15, 0xbfe82f19
	s_mov_b32 s17, 0xbfd207e7
	;; [unrolled: 1-line block ×4, first 2 shown]
	v_and_b32_e32 v35, 0xff, v12
	s_mov_b32 s24, 0x8764f0ba
	s_mov_b32 s23, 0x3fda9628
	;; [unrolled: 1-line block ×4, first 2 shown]
	v_mul_u32_u24_e32 v12, 10, v35
	s_mov_b32 s19, 0x3fd207e7
	s_mov_b32 s29, 0x3fefac9e
	;; [unrolled: 1-line block ×3, first 2 shown]
	s_wait_alu 0xfffe
	s_mov_b32 s18, s16
	v_lshlrev_b32_e32 v12, 4, v12
	s_mov_b32 s28, s6
	s_mov_b32 s30, s2
	;; [unrolled: 1-line block ×4, first 2 shown]
	s_clause 0x9
	global_load_b128 v[30:33], v12, s[4:5] offset:352
	global_load_b128 v[42:45], v12, s[4:5] offset:368
	;; [unrolled: 1-line block ×10, first 2 shown]
	ds_load_b64 v[12:13], v75
	ds_load_b64 v[50:51], v74
	;; [unrolled: 1-line block ×3, first 2 shown]
	ds_load_b64 v[99:100], v76 offset:10560
	ds_load_2addr_b64 v[95:98], v38 offset0:16 offset1:148
	s_mov_b32 s27, 0xbfe4f49e
	s_mov_b32 s37, 0xbfeeb42a
	;; [unrolled: 1-line block ×4, first 2 shown]
	v_cmp_gt_u32_e64 s0, 0x63, v70
	s_wait_loadcnt_dscnt 0x904
	v_mul_f64_e32 v[22:23], v[12:13], v[32:33]
	s_wait_loadcnt_dscnt 0x803
	v_mul_f64_e32 v[52:53], v[50:51], v[44:45]
	s_wait_loadcnt_dscnt 0x602
	v_mul_f64_e32 v[101:102], v[77:78], v[60:61]
	s_wait_loadcnt 0x5
	v_mul_f64_e32 v[38:39], v[6:7], v[64:65]
	v_mul_f64_e32 v[60:61], v[14:15], v[60:61]
	s_wait_loadcnt 0x3
	v_mul_f64_e32 v[103:104], v[4:5], v[81:82]
	v_fma_f64 v[40:41], v[20:21], v[30:31], v[22:23]
	v_mul_f64_e32 v[20:21], v[20:21], v[32:33]
	v_mul_f64_e32 v[32:33], v[16:17], v[48:49]
	v_fma_f64 v[22:23], v[18:19], v[42:43], v[52:53]
	v_mul_f64_e32 v[18:19], v[18:19], v[44:45]
	s_wait_dscnt 0x1
	v_mul_f64_e32 v[44:45], v[99:100], v[48:49]
	v_add_f64_e32 v[52:53], v[28:29], v[40:41]
	v_fma_f64 v[54:55], v[12:13], v[30:31], -v[20:21]
	v_fma_f64 v[12:13], v[99:100], v[46:47], -v[32:33]
	s_wait_dscnt 0x0
	v_mul_f64_e32 v[99:100], v[95:96], v[68:69]
	v_fma_f64 v[20:21], v[14:15], v[58:59], v[101:102]
	ds_load_2addr_b64 v[30:33], v36 offset0:32 offset1:164
	v_fma_f64 v[48:49], v[50:51], v[42:43], -v[18:19]
	v_fma_f64 v[50:51], v[16:17], v[46:47], v[44:45]
	v_fma_f64 v[44:45], v[77:78], v[58:59], -v[60:61]
	s_wait_dscnt 0x0
	v_mul_f64_e32 v[64:65], v[32:33], v[64:65]
	v_fma_f64 v[14:15], v[32:33], v[62:63], -v[38:39]
	s_wait_loadcnt 0x2
	v_mul_f64_e32 v[38:39], v[97:98], v[85:86]
	v_fma_f64 v[16:17], v[30:31], v[79:80], -v[103:104]
	v_add_f64_e32 v[52:53], v[52:53], v[22:23]
	v_add_f64_e64 v[32:33], v[54:55], -v[12:13]
	v_fma_f64 v[18:19], v[8:9], v[66:67], v[99:100]
	ds_load_2addr_b64 v[99:102], v37 offset0:24 offset1:156
	v_mul_f64_e32 v[8:9], v[8:9], v[68:69]
	v_mul_f64_e32 v[68:69], v[30:31], v[81:82]
	v_add_f64_e32 v[60:61], v[40:41], v[50:51]
	s_wait_loadcnt_dscnt 0x0
	v_mul_f64_e32 v[30:31], v[99:100], v[93:94]
	v_fma_f64 v[46:47], v[6:7], v[62:63], v[64:65]
	v_add_f64_e64 v[6:7], v[48:49], -v[14:15]
	v_fma_f64 v[38:39], v[10:11], v[83:84], v[38:39]
	v_mul_f64_e32 v[10:11], v[10:11], v[85:86]
	v_mul_f64_e32 v[85:86], v[0:1], v[93:94]
	v_add_f64_e32 v[42:43], v[52:53], v[20:21]
	v_mul_f64_e32 v[52:53], v[2:3], v[89:90]
	v_mul_f64_e32 v[77:78], s[12:13], v[32:33]
	v_mul_f64_e32 v[81:82], s[6:7], v[32:33]
	v_mul_f64_e32 v[62:63], s[2:3], v[32:33]
	v_mul_f64_e32 v[103:104], s[14:15], v[32:33]
	v_mul_f64_e32 v[32:33], s[16:17], v[32:33]
	v_mul_f64_e32 v[89:90], v[101:102], v[89:90]
	v_fma_f64 v[58:59], v[95:96], v[66:67], -v[8:9]
	v_fma_f64 v[64:65], v[4:5], v[79:80], v[68:69]
	v_add_f64_e64 v[4:5], v[44:45], -v[16:17]
	v_add_f64_e32 v[8:9], v[22:23], v[46:47]
	v_mul_f64_e32 v[68:69], s[12:13], v[6:7]
	v_mul_f64_e32 v[79:80], s[14:15], v[6:7]
	s_wait_alu 0xfffe
	v_mul_f64_e32 v[93:94], s[18:19], v[6:7]
	v_mul_f64_e32 v[95:96], s[28:29], v[6:7]
	;; [unrolled: 1-line block ×3, first 2 shown]
	v_add_f64_e32 v[105:106], v[42:43], v[18:19]
	v_fma_f64 v[42:43], v[101:102], v[87:88], -v[52:53]
	v_fma_f64 v[52:53], v[0:1], v[91:92], v[30:31]
	v_fma_f64 v[30:31], v[60:61], s[22:23], v[77:78]
	v_fma_f64 v[77:78], v[60:61], s[22:23], -v[77:78]
	v_fma_f64 v[101:102], v[60:61], s[20:21], v[81:82]
	v_fma_f64 v[0:1], v[60:61], s[24:25], v[62:63]
	;; [unrolled: 1-line block ×4, first 2 shown]
	v_fma_f64 v[103:104], v[60:61], s[26:27], -v[103:104]
	v_fma_f64 v[32:33], v[60:61], s[36:37], -v[32:33]
	;; [unrolled: 1-line block ×6, first 2 shown]
	v_fma_f64 v[66:67], v[2:3], v[87:88], v[89:90]
	v_add_f64_e32 v[2:3], v[20:21], v[64:65]
	v_mul_f64_e32 v[83:84], s[6:7], v[4:5]
	v_mul_f64_e32 v[85:86], s[18:19], v[4:5]
	;; [unrolled: 1-line block ×5, first 2 shown]
	v_fma_f64 v[91:92], v[8:9], s[22:23], v[68:69]
	v_fma_f64 v[68:69], v[8:9], s[22:23], -v[68:69]
	v_fma_f64 v[97:98], v[8:9], s[26:27], v[79:80]
	v_fma_f64 v[79:80], v[8:9], s[26:27], -v[79:80]
	;; [unrolled: 2-line block ×5, first 2 shown]
	v_add_f64_e32 v[105:106], v[105:106], v[38:39]
	v_add_f64_e64 v[10:11], v[58:59], -v[42:43]
	v_add_f64_e32 v[8:9], v[28:29], v[30:31]
	v_add_f64_e32 v[30:31], v[28:29], v[77:78]
	;; [unrolled: 1-line block ×10, first 2 shown]
	v_add_f64_e64 v[111:112], v[60:61], -v[62:63]
	v_add_f64_e32 v[109:110], v[18:19], v[66:67]
	v_fma_f64 v[125:126], v[2:3], s[20:21], v[83:84]
	v_fma_f64 v[83:84], v[2:3], s[20:21], -v[83:84]
	v_fma_f64 v[127:128], v[2:3], s[36:37], v[85:86]
	v_fma_f64 v[85:86], v[2:3], s[36:37], -v[85:86]
	;; [unrolled: 2-line block ×5, first 2 shown]
	v_add_f64_e32 v[105:106], v[105:106], v[52:53]
	v_mul_f64_e32 v[119:120], s[28:29], v[10:11]
	v_mul_f64_e32 v[121:122], s[2:3], v[10:11]
	v_add_f64_e32 v[4:5], v[97:98], v[8:9]
	v_add_f64_e32 v[8:9], v[79:80], v[30:31]
	;; [unrolled: 1-line block ×3, first 2 shown]
	v_mul_f64_e32 v[117:118], s[14:15], v[10:11]
	v_mul_f64_e32 v[123:124], s[16:17], v[10:11]
	;; [unrolled: 1-line block ×3, first 2 shown]
	v_add_f64_e32 v[0:1], v[91:92], v[0:1]
	v_add_f64_e32 v[77:78], v[113:114], v[101:102]
	;; [unrolled: 1-line block ×8, first 2 shown]
	v_mul_f64_e32 v[93:94], s[16:17], v[111:112]
	v_mul_f64_e32 v[95:96], s[30:31], v[111:112]
	;; [unrolled: 1-line block ×5, first 2 shown]
	v_add_f64_e32 v[68:69], v[105:106], v[66:67]
	v_fma_f64 v[107:108], v[109:110], s[20:21], v[119:120]
	v_fma_f64 v[111:112], v[109:110], s[20:21], -v[119:120]
	v_fma_f64 v[113:114], v[109:110], s[24:25], v[121:122]
	v_add_f64_e32 v[4:5], v[127:128], v[4:5]
	v_add_f64_e32 v[8:9], v[85:86], v[8:9]
	;; [unrolled: 1-line block ×3, first 2 shown]
	v_fma_f64 v[103:104], v[109:110], s[26:27], v[117:118]
	v_fma_f64 v[105:106], v[109:110], s[26:27], -v[117:118]
	v_fma_f64 v[115:116], v[109:110], s[24:25], -v[121:122]
	v_fma_f64 v[117:118], v[109:110], s[36:37], v[123:124]
	v_fma_f64 v[121:122], v[109:110], s[22:23], v[10:11]
	v_add_f64_e32 v[77:78], v[131:132], v[77:78]
	v_add_f64_e32 v[85:86], v[133:134], v[91:92]
	v_fma_f64 v[119:120], v[109:110], s[36:37], -v[123:124]
	v_fma_f64 v[10:11], v[109:110], s[22:23], -v[10:11]
	v_add_f64_e32 v[79:80], v[89:90], v[79:80]
	v_add_f64_e32 v[2:3], v[2:3], v[6:7]
	;; [unrolled: 1-line block ×5, first 2 shown]
	v_fma_f64 v[83:84], v[81:82], s[36:37], -v[93:94]
	v_fma_f64 v[87:88], v[81:82], s[24:25], v[95:96]
	v_fma_f64 v[89:90], v[81:82], s[24:25], -v[95:96]
	v_fma_f64 v[91:92], v[81:82], s[26:27], v[97:98]
	v_fma_f64 v[95:96], v[81:82], s[22:23], v[99:100]
	v_add_f64_e32 v[32:33], v[68:69], v[64:65]
	v_fma_f64 v[68:69], v[81:82], s[36:37], v[93:94]
	v_fma_f64 v[93:94], v[81:82], s[26:27], -v[97:98]
	v_fma_f64 v[97:98], v[81:82], s[22:23], -v[99:100]
	v_fma_f64 v[99:100], v[81:82], s[20:21], v[101:102]
	v_fma_f64 v[81:82], v[81:82], s[20:21], -v[101:102]
	v_add_f64_e32 v[4:5], v[107:108], v[4:5]
	v_add_f64_e32 v[8:9], v[111:112], v[8:9]
	;; [unrolled: 1-line block ×16, first 2 shown]
	v_add_nc_u32_e32 v77, 0x800, v76
	v_add_nc_u32_e32 v78, 0x1400, v76
	v_add_f64_e32 v[89:90], v[97:98], v[79:80]
	v_add_f64_e32 v[2:3], v[81:82], v[2:3]
	;; [unrolled: 1-line block ×5, first 2 shown]
	v_and_b32_e32 v10, 0xffff, v34
	v_lshlrev_b32_e32 v11, 3, v35
	ds_load_b64 v[68:69], v76
	global_wb scope:SCOPE_SE
	s_wait_dscnt 0x0
	s_barrier_signal -1
	v_mul_u32_u24_e32 v10, 0xb58, v10
	s_barrier_wait -1
	global_inv scope:SCOPE_SE
	v_add3_u32 v79, 0, v10, v11
	s_delay_alu instid0(VALU_DEP_1)
	v_add_nc_u32_e32 v80, 0x800, v79
	v_add_f64_e32 v[6:7], v[103:104], v[50:51]
	ds_store_2addr_b64 v79, v[4:5], v[8:9] offset0:66 offset1:99
	ds_store_2addr_b64 v79, v[87:88], v[85:86] offset0:132 offset1:165
	;; [unrolled: 1-line block ×4, first 2 shown]
	ds_store_b64 v79, v[32:33] offset:2640
	ds_store_2addr_b64 v79, v[6:7], v[0:1] offset1:33
	global_wb scope:SCOPE_SE
	s_wait_dscnt 0x0
	s_barrier_signal -1
	s_barrier_wait -1
	global_inv scope:SCOPE_SE
	ds_load_2addr_b64 v[8:11], v77 offset0:107 offset1:239
	ds_load_2addr_b64 v[0:3], v78 offset0:86 offset1:218
	;; [unrolled: 1-line block ×3, first 2 shown]
	ds_load_b64 v[36:37], v76
	ds_load_b64 v[34:35], v75
	s_and_saveexec_b32 s1, s0
	s_cbranch_execz .LBB0_23
; %bb.22:
	ds_load_b64 v[28:29], v74
	ds_load_b64 v[30:31], v76 offset:5016
	ds_load_b64 v[32:33], v76 offset:7920
	;; [unrolled: 1-line block ×3, first 2 shown]
.LBB0_23:
	s_wait_alu 0xfffe
	s_or_b32 exec_lo, exec_lo, s1
	v_add_f64_e32 v[81:82], v[68:69], v[54:55]
	v_add_f64_e32 v[54:55], v[54:55], v[12:13]
	v_add_f64_e64 v[40:41], v[40:41], -v[50:51]
	s_mov_b32 s39, 0x3fe82f19
	s_mov_b32 s38, s14
	v_add_f64_e64 v[22:23], v[22:23], -v[46:47]
	v_add_f64_e64 v[20:21], v[20:21], -v[64:65]
	;; [unrolled: 1-line block ×4, first 2 shown]
	global_wb scope:SCOPE_SE
	s_wait_dscnt 0x0
	s_barrier_signal -1
	s_barrier_wait -1
	global_inv scope:SCOPE_SE
	v_add_f64_e32 v[81:82], v[81:82], v[48:49]
	v_add_f64_e32 v[48:49], v[48:49], v[14:15]
	v_mul_f64_e32 v[50:51], s[24:25], v[54:55]
	v_mul_f64_e32 v[83:84], s[22:23], v[54:55]
	;; [unrolled: 1-line block ×5, first 2 shown]
	v_add_f64_e32 v[81:82], v[81:82], v[44:45]
	v_add_f64_e32 v[44:45], v[44:45], v[16:17]
	v_mul_f64_e32 v[46:47], s[22:23], v[48:49]
	v_mul_f64_e32 v[89:90], s[26:27], v[48:49]
	;; [unrolled: 1-line block ×5, first 2 shown]
	v_fma_f64 v[95:96], v[40:41], s[30:31], v[50:51]
	v_fma_f64 v[97:98], v[40:41], s[34:35], v[83:84]
	v_fma_f64 v[83:84], v[40:41], s[12:13], v[83:84]
	v_fma_f64 v[99:100], v[40:41], s[28:29], v[85:86]
	v_fma_f64 v[101:102], v[40:41], s[38:39], v[87:88]
	v_fma_f64 v[87:88], v[40:41], s[14:15], v[87:88]
	v_fma_f64 v[103:104], v[40:41], s[18:19], v[54:55]
	v_fma_f64 v[54:55], v[40:41], s[16:17], v[54:55]
	v_fma_f64 v[85:86], v[40:41], s[6:7], v[85:86]
	v_fma_f64 v[40:41], v[40:41], s[2:3], v[50:51]
	v_add_f64_e32 v[81:82], v[81:82], v[58:59]
	v_add_f64_e32 v[58:59], v[58:59], v[42:43]
	v_mul_f64_e32 v[64:65], s[20:21], v[44:45]
	v_mul_f64_e32 v[105:106], s[22:23], v[44:45]
	;; [unrolled: 1-line block ×3, first 2 shown]
	v_fma_f64 v[109:110], v[22:23], s[34:35], v[46:47]
	v_fma_f64 v[46:47], v[22:23], s[12:13], v[46:47]
	;; [unrolled: 1-line block ×10, first 2 shown]
	v_add_f64_e32 v[48:49], v[68:69], v[95:96]
	v_add_f64_e32 v[95:96], v[68:69], v[97:98]
	;; [unrolled: 1-line block ×11, first 2 shown]
	v_mul_f64_e32 v[81:82], s[36:37], v[44:45]
	v_mul_f64_e32 v[44:45], s[26:27], v[44:45]
	v_add_f64_e32 v[60:61], v[60:61], v[62:63]
	v_mul_f64_e32 v[66:67], s[20:21], v[58:59]
	v_mul_f64_e32 v[68:69], s[24:25], v[58:59]
	;; [unrolled: 1-line block ×3, first 2 shown]
	v_fma_f64 v[119:120], v[20:21], s[28:29], v[64:65]
	v_fma_f64 v[64:65], v[20:21], s[6:7], v[64:65]
	;; [unrolled: 1-line block ×6, first 2 shown]
	v_add_f64_e32 v[83:84], v[89:90], v[83:84]
	v_add_f64_e32 v[89:90], v[113:114], v[97:98]
	;; [unrolled: 1-line block ×8, first 2 shown]
	v_mul_f64_e32 v[62:63], s[26:27], v[58:59]
	v_mul_f64_e32 v[58:59], s[22:23], v[58:59]
	v_fma_f64 v[121:122], v[20:21], s[16:17], v[81:82]
	v_fma_f64 v[81:82], v[20:21], s[18:19], v[81:82]
	;; [unrolled: 1-line block ×4, first 2 shown]
	v_add_f64_e32 v[44:45], v[109:110], v[48:49]
	v_add_f64_e32 v[48:49], v[111:112], v[95:96]
	;; [unrolled: 1-line block ×3, first 2 shown]
	v_mul_f64_e32 v[46:47], s[36:37], v[60:61]
	v_mul_f64_e32 v[52:53], s[26:27], v[60:61]
	;; [unrolled: 1-line block ×3, first 2 shown]
	v_fma_f64 v[97:98], v[18:19], s[6:7], v[66:67]
	v_fma_f64 v[66:67], v[18:19], s[28:29], v[66:67]
	;; [unrolled: 1-line block ×6, first 2 shown]
	v_add_f64_e32 v[87:88], v[107:108], v[87:88]
	v_add_f64_e32 v[40:41], v[64:65], v[40:41]
	;; [unrolled: 1-line block ×3, first 2 shown]
	v_mul_f64_e32 v[50:51], s[24:25], v[60:61]
	v_mul_f64_e32 v[60:61], s[20:21], v[60:61]
	v_fma_f64 v[91:92], v[18:19], s[38:39], v[62:63]
	v_fma_f64 v[62:63], v[18:19], s[14:15], v[62:63]
	v_fma_f64 v[109:110], v[18:19], s[12:13], v[58:59]
	v_fma_f64 v[18:19], v[18:19], s[34:35], v[58:59]
	v_add_f64_e32 v[44:45], v[119:120], v[44:45]
	v_add_f64_e32 v[48:49], v[121:122], v[48:49]
	;; [unrolled: 1-line block ×8, first 2 shown]
	v_fma_f64 v[64:65], v[38:39], s[38:39], v[52:53]
	v_fma_f64 v[52:53], v[38:39], s[14:15], v[52:53]
	;; [unrolled: 1-line block ×4, first 2 shown]
	v_add_f64_e32 v[16:17], v[42:43], v[16:17]
	v_fma_f64 v[42:43], v[38:39], s[18:19], v[46:47]
	v_fma_f64 v[46:47], v[38:39], s[16:17], v[46:47]
	;; [unrolled: 1-line block ×6, first 2 shown]
	v_add_f64_e32 v[44:45], v[91:92], v[44:45]
	v_add_f64_e32 v[48:49], v[97:98], v[48:49]
	v_add_f64_e32 v[58:59], v[66:67], v[58:59]
	v_add_f64_e32 v[60:61], v[99:100], v[81:82]
	v_add_f64_e32 v[66:67], v[101:102], v[83:84]
	v_add_f64_e32 v[83:84], v[109:110], v[89:90]
	v_add_f64_e32 v[81:82], v[103:104], v[87:88]
	v_add_f64_e32 v[18:19], v[18:19], v[20:21]
	v_add_f64_e32 v[20:21], v[68:69], v[22:23]
	v_add_f64_e32 v[22:23], v[62:63], v[40:41]
	v_add_f64_e32 v[14:15], v[16:17], v[14:15]
	v_add_f64_e32 v[16:17], v[42:43], v[44:45]
	v_add_f64_e32 v[44:45], v[54:55], v[48:49]
	v_add_f64_e32 v[40:41], v[50:51], v[58:59]
	v_add_f64_e32 v[48:49], v[64:65], v[60:61]
	v_add_f64_e32 v[50:51], v[93:94], v[66:67]
	v_add_f64_e32 v[58:59], v[95:96], v[83:84]
	v_add_f64_e32 v[54:55], v[85:86], v[81:82]
	v_add_f64_e32 v[18:19], v[38:39], v[18:19]
	v_add_f64_e32 v[38:39], v[52:53], v[20:21]
	v_add_f64_e32 v[42:43], v[46:47], v[22:23]
	v_add_f64_e32 v[12:13], v[14:15], v[12:13]
	v_add_nc_u32_e32 v14, 0x2000, v76
	ds_store_2addr_b64 v79, v[44:45], v[48:49] offset0:66 offset1:99
	ds_store_2addr_b64 v79, v[50:51], v[58:59] offset0:132 offset1:165
	;; [unrolled: 1-line block ×4, first 2 shown]
	ds_store_b64 v79, v[42:43] offset:2640
	ds_store_2addr_b64 v79, v[12:13], v[16:17] offset1:33
	global_wb scope:SCOPE_SE
	s_wait_dscnt 0x0
	s_barrier_signal -1
	s_barrier_wait -1
	global_inv scope:SCOPE_SE
	ds_load_2addr_b64 v[16:19], v77 offset0:107 offset1:239
	ds_load_2addr_b64 v[20:23], v78 offset0:86 offset1:218
	;; [unrolled: 1-line block ×3, first 2 shown]
	ds_load_b64 v[48:49], v76
	ds_load_b64 v[46:47], v75
	s_and_saveexec_b32 s1, s0
	s_cbranch_execz .LBB0_25
; %bb.24:
	ds_load_b64 v[38:39], v74
	ds_load_b64 v[40:41], v76 offset:5016
	ds_load_b64 v[42:43], v76 offset:7920
	;; [unrolled: 1-line block ×3, first 2 shown]
.LBB0_25:
	s_wait_alu 0xfffe
	s_or_b32 exec_lo, exec_lo, s1
	s_and_saveexec_b32 s1, vcc_lo
	s_cbranch_execz .LBB0_28
; %bb.26:
	v_mul_i32_i24_e32 v44, 3, v73
	v_mul_u32_u24_e32 v52, 3, v70
	v_mov_b32_e32 v45, 0
	s_delay_alu instid0(VALU_DEP_1) | instskip(NEXT) | instid1(VALU_DEP_3)
	v_lshlrev_b64_e32 v[50:51], 4, v[44:45]
	v_lshlrev_b32_e32 v44, 4, v52
	s_delay_alu instid0(VALU_DEP_2) | instskip(SKIP_1) | instid1(VALU_DEP_3)
	v_add_co_u32 v54, vcc_lo, s4, v50
	s_wait_alu 0xfffd
	v_add_co_ci_u32_e32 v55, vcc_lo, s5, v51, vcc_lo
	s_clause 0x5
	global_load_b128 v[50:53], v44, s[4:5] offset:5648
	global_load_b128 v[58:61], v44, s[4:5] offset:5664
	global_load_b128 v[62:65], v[54:55], off offset:5648
	global_load_b128 v[66:69], v[54:55], off offset:5632
	global_load_b128 v[73:76], v44, s[4:5] offset:5632
	global_load_b128 v[77:80], v[54:55], off offset:5664
	s_wait_loadcnt 0x5
	v_mul_f64_e32 v[54:55], v[0:1], v[52:53]
	s_wait_loadcnt 0x4
	v_mul_f64_e32 v[81:82], v[4:5], v[58:59]
	s_wait_dscnt 0x3
	v_mul_f64_e32 v[52:53], v[20:21], v[52:53]
	v_mul_f64_e32 v[4:5], v[4:5], v[60:61]
	s_wait_loadcnt 0x1
	v_mul_f64_e32 v[87:88], v[8:9], v[75:76]
	v_mul_f64_e32 v[8:9], v[8:9], v[73:74]
	;; [unrolled: 1-line block ×5, first 2 shown]
	s_wait_loadcnt 0x0
	v_mul_f64_e32 v[89:90], v[6:7], v[79:80]
	v_mul_f64_e32 v[64:65], v[22:23], v[64:65]
	;; [unrolled: 1-line block ×3, first 2 shown]
	v_fma_f64 v[20:21], v[20:21], v[50:51], -v[54:55]
	s_wait_dscnt 0x2
	v_fma_f64 v[54:55], v[12:13], v[60:61], v[81:82]
	v_fma_f64 v[0:1], v[0:1], v[50:51], v[52:53]
	v_fma_f64 v[4:5], v[12:13], v[58:59], -v[4:5]
	v_fma_f64 v[50:51], v[16:17], v[73:74], -v[87:88]
	v_fma_f64 v[8:9], v[16:17], v[75:76], v[8:9]
	v_fma_f64 v[12:13], v[22:23], v[62:63], -v[83:84]
	v_fma_f64 v[22:23], v[18:19], v[68:69], v[85:86]
	v_fma_f64 v[10:11], v[18:19], v[66:67], -v[10:11]
	v_fma_f64 v[16:17], v[14:15], v[77:78], -v[89:90]
	v_fma_f64 v[2:3], v[2:3], v[62:63], v[64:65]
	v_fma_f64 v[6:7], v[14:15], v[79:80], v[6:7]
	v_mul_hi_u32 v73, 0x691473a9, v72
	s_wait_dscnt 0x1
	v_add_f64_e64 v[18:19], v[48:49], -v[20:21]
	v_add_f64_e64 v[52:53], v[36:37], -v[0:1]
	;; [unrolled: 1-line block ×4, first 2 shown]
	s_wait_dscnt 0x0
	v_add_f64_e64 v[54:55], v[46:47], -v[12:13]
	v_mad_co_u64_u32 v[4:5], null, s8, v70, 0
	v_add_f64_e64 v[16:17], v[10:11], -v[16:17]
	v_add_f64_e64 v[58:59], v[34:35], -v[2:3]
	;; [unrolled: 1-line block ×3, first 2 shown]
	s_delay_alu instid0(VALU_DEP_4) | instskip(NEXT) | instid1(VALU_DEP_1)
	v_dual_mov_b32 v0, v5 :: v_dual_add_nc_u32 v69, 0x441, v70
	v_mad_co_u64_u32 v[60:61], null, s8, v69, 0
	s_delay_alu instid0(VALU_DEP_1) | instskip(NEXT) | instid1(VALU_DEP_1)
	v_dual_mov_b32 v5, v61 :: v_dual_add_nc_u32 v68, 0x2d6, v70
	v_mad_co_u64_u32 v[12:13], null, s8, v68, 0
	v_add_nc_u32_e32 v44, 0x16b, v70
	v_fma_f64 v[48:49], v[48:49], 2.0, -v[18:19]
	v_fma_f64 v[62:63], v[36:37], 2.0, -v[52:53]
	;; [unrolled: 1-line block ×5, first 2 shown]
	v_mad_co_u64_u32 v[8:9], null, s9, v70, v[0:1]
	v_mov_b32_e32 v1, v13
	v_fma_f64 v[64:65], v[10:11], 2.0, -v[16:17]
	v_fma_f64 v[66:67], v[34:35], 2.0, -v[58:59]
	;; [unrolled: 1-line block ×3, first 2 shown]
	v_mad_co_u64_u32 v[6:7], null, s8, v44, 0
	v_sub_nc_u32_e32 v10, v72, v73
	s_delay_alu instid0(VALU_DEP_2) | instskip(NEXT) | instid1(VALU_DEP_2)
	v_mov_b32_e32 v0, v7
	v_lshrrev_b32_e32 v7, 1, v10
	s_delay_alu instid0(VALU_DEP_4) | instskip(SKIP_1) | instid1(VALU_DEP_4)
	v_mad_co_u64_u32 v[34:35], null, s9, v69, v[5:6]
	v_mov_b32_e32 v5, v8
	v_mad_co_u64_u32 v[9:10], null, s9, v44, v[0:1]
	s_delay_alu instid0(VALU_DEP_4) | instskip(SKIP_2) | instid1(VALU_DEP_3)
	v_add_nc_u32_e32 v7, v7, v73
	v_mad_co_u64_u32 v[10:11], null, s9, v68, v[1:2]
	v_add_co_u32 v0, vcc_lo, s10, v56
	v_lshrrev_b32_e32 v8, 8, v7
	s_wait_alu 0xfffd
	v_add_co_ci_u32_e32 v1, vcc_lo, s11, v57, vcc_lo
	s_delay_alu instid0(VALU_DEP_4) | instskip(NEXT) | instid1(VALU_DEP_3)
	v_mov_b32_e32 v13, v10
	v_mad_u32_u24 v44, 0x441, v8, v72
	v_mov_b32_e32 v7, v9
	v_add_f64_e64 v[8:9], v[18:19], -v[20:21]
	s_delay_alu instid0(VALU_DEP_4)
	v_lshlrev_b64_e32 v[68:69], 4, v[12:13]
	v_add_f64_e64 v[12:13], v[48:49], -v[36:37]
	v_add_nc_u32_e32 v36, 0x2d6, v44
	v_add_nc_u32_e32 v37, 0x441, v44
	v_add_f64_e64 v[10:11], v[62:63], -v[50:51]
	v_lshlrev_b64_e32 v[56:57], 4, v[6:7]
	v_add_f64_e32 v[6:7], v[52:53], v[14:15]
	v_mad_co_u64_u32 v[74:75], null, s8, v36, 0
	v_add_f64_e64 v[14:15], v[66:67], -v[22:23]
	v_mad_co_u64_u32 v[76:77], null, s8, v37, 0
	v_mov_b32_e32 v61, v34
	v_lshlrev_b64_e32 v[34:35], 4, v[4:5]
	v_add_f64_e64 v[4:5], v[54:55], -v[2:3]
	v_add_f64_e32 v[2:3], v[58:59], v[16:17]
	v_add_f64_e64 v[16:17], v[46:47], -v[64:65]
	v_mad_co_u64_u32 v[64:65], null, s8, v44, 0
	v_add_co_u32 v22, vcc_lo, v0, v34
	v_mov_b32_e32 v34, v77
	s_wait_alu 0xfffd
	v_add_co_ci_u32_e32 v23, vcc_lo, v1, v35, vcc_lo
	s_delay_alu instid0(VALU_DEP_4) | instskip(SKIP_2) | instid1(VALU_DEP_3)
	v_dual_mov_b32 v20, v65 :: v_dual_add_nc_u32 v35, 0x16b, v44
	v_lshlrev_b64_e32 v[60:61], 4, v[60:61]
	v_add_co_u32 v56, vcc_lo, v0, v56
	v_mad_co_u64_u32 v[72:73], null, s8, v35, 0
	s_wait_alu 0xfffd
	v_add_co_ci_u32_e32 v57, vcc_lo, v1, v57, vcc_lo
	s_delay_alu instid0(VALU_DEP_2) | instskip(NEXT) | instid1(VALU_DEP_1)
	v_mov_b32_e32 v21, v73
	v_mad_co_u64_u32 v[78:79], null, s9, v44, v[20:21]
	v_mov_b32_e32 v20, v75
	v_mad_co_u64_u32 v[79:80], null, s9, v35, v[21:22]
	v_fma_f64 v[50:51], v[66:67], 2.0, -v[14:15]
	s_delay_alu instid0(VALU_DEP_3)
	v_mad_co_u64_u32 v[80:81], null, s9, v36, v[20:21]
	v_mad_co_u64_u32 v[81:82], null, s9, v37, v[34:35]
	v_fma_f64 v[36:37], v[48:49], 2.0, -v[12:13]
	v_fma_f64 v[34:35], v[62:63], 2.0, -v[10:11]
	v_fma_f64 v[20:21], v[18:19], 2.0, -v[8:9]
	v_fma_f64 v[18:19], v[52:53], 2.0, -v[6:7]
	v_fma_f64 v[52:53], v[46:47], 2.0, -v[16:17]
	v_fma_f64 v[48:49], v[54:55], 2.0, -v[4:5]
	v_fma_f64 v[46:47], v[58:59], 2.0, -v[2:3]
	v_mov_b32_e32 v65, v78
	v_mov_b32_e32 v73, v79
	v_add_co_u32 v54, vcc_lo, v0, v68
	v_mov_b32_e32 v75, v80
	s_delay_alu instid0(VALU_DEP_4)
	v_lshlrev_b64_e32 v[58:59], 4, v[64:65]
	s_wait_alu 0xfffd
	v_add_co_ci_u32_e32 v55, vcc_lo, v1, v69, vcc_lo
	v_add_co_u32 v60, vcc_lo, v0, v60
	v_lshlrev_b64_e32 v[62:63], 4, v[72:73]
	v_mov_b32_e32 v77, v81
	s_wait_alu 0xfffd
	v_add_co_ci_u32_e32 v61, vcc_lo, v1, v61, vcc_lo
	v_lshlrev_b64_e32 v[64:65], 4, v[74:75]
	v_add_co_u32 v58, vcc_lo, v0, v58
	s_wait_alu 0xfffd
	v_add_co_ci_u32_e32 v59, vcc_lo, v1, v59, vcc_lo
	v_lshlrev_b64_e32 v[66:67], 4, v[76:77]
	v_add_co_u32 v62, vcc_lo, v0, v62
	s_wait_alu 0xfffd
	v_add_co_ci_u32_e32 v63, vcc_lo, v1, v63, vcc_lo
	v_add_co_u32 v64, vcc_lo, v0, v64
	s_wait_alu 0xfffd
	v_add_co_ci_u32_e32 v65, vcc_lo, v1, v65, vcc_lo
	v_add_co_u32 v66, vcc_lo, v0, v66
	s_wait_alu 0xfffd
	v_add_co_ci_u32_e32 v67, vcc_lo, v1, v67, vcc_lo
	s_clause 0x7
	global_store_b128 v[22:23], v[34:37], off
	global_store_b128 v[56:57], v[18:21], off
	;; [unrolled: 1-line block ×8, first 2 shown]
	s_and_b32 exec_lo, exec_lo, s0
	s_cbranch_execz .LBB0_28
; %bb.27:
	v_add_nc_u32_e32 v2, 0xffffff9d, v70
	s_delay_alu instid0(VALU_DEP_1) | instskip(NEXT) | instid1(VALU_DEP_1)
	v_cndmask_b32_e64 v2, v2, v71, s0
	v_mul_i32_i24_e32 v44, 3, v2
	s_delay_alu instid0(VALU_DEP_1) | instskip(NEXT) | instid1(VALU_DEP_1)
	v_lshlrev_b64_e32 v[2:3], 4, v[44:45]
	v_add_co_u32 v10, vcc_lo, s4, v2
	s_wait_alu 0xfffd
	s_delay_alu instid0(VALU_DEP_2)
	v_add_co_ci_u32_e32 v11, vcc_lo, s5, v3, vcc_lo
	s_clause 0x2
	global_load_b128 v[2:5], v[10:11], off offset:5632
	global_load_b128 v[6:9], v[10:11], off offset:5648
	;; [unrolled: 1-line block ×3, first 2 shown]
	s_wait_loadcnt 0x2
	v_mul_f64_e32 v[14:15], v[40:41], v[4:5]
	v_mul_f64_e32 v[4:5], v[30:31], v[4:5]
	s_wait_loadcnt 0x1
	v_mul_f64_e32 v[16:17], v[42:43], v[8:9]
	v_mul_f64_e32 v[8:9], v[32:33], v[8:9]
	;; [unrolled: 3-line block ×3, first 2 shown]
	v_fma_f64 v[14:15], v[30:31], v[2:3], v[14:15]
	v_fma_f64 v[2:3], v[40:41], v[2:3], -v[4:5]
	v_fma_f64 v[4:5], v[32:33], v[6:7], v[16:17]
	v_fma_f64 v[6:7], v[42:43], v[6:7], -v[8:9]
	;; [unrolled: 2-line block ×3, first 2 shown]
	v_add_nc_u32_e32 v31, 0x273, v70
	v_add_nc_u32_e32 v32, 0x3de, v70
	;; [unrolled: 1-line block ×3, first 2 shown]
	s_delay_alu instid0(VALU_DEP_3) | instskip(NEXT) | instid1(VALU_DEP_3)
	v_mad_co_u64_u32 v[24:25], null, s8, v31, 0
	v_mad_co_u64_u32 v[26:27], null, s8, v32, 0
	v_add_f64_e64 v[12:13], v[28:29], -v[4:5]
	v_add_f64_e64 v[18:19], v[38:39], -v[6:7]
	;; [unrolled: 1-line block ×4, first 2 shown]
	s_delay_alu instid0(VALU_DEP_4) | instskip(NEXT) | instid1(VALU_DEP_4)
	v_fma_f64 v[16:17], v[28:29], 2.0, -v[12:13]
	v_fma_f64 v[20:21], v[38:39], 2.0, -v[18:19]
	s_delay_alu instid0(VALU_DEP_4) | instskip(NEXT) | instid1(VALU_DEP_4)
	v_fma_f64 v[8:9], v[14:15], 2.0, -v[4:5]
	v_fma_f64 v[10:11], v[2:3], 2.0, -v[6:7]
	v_add_f64_e32 v[2:3], v[12:13], v[6:7]
	v_add_f64_e64 v[4:5], v[18:19], -v[4:5]
	v_mad_co_u64_u32 v[28:29], null, s8, v33, 0
	v_add_f64_e64 v[6:7], v[16:17], -v[8:9]
	v_add_f64_e64 v[8:9], v[20:21], -v[10:11]
	v_add_nc_u32_e32 v11, 0x108, v70
	s_delay_alu instid0(VALU_DEP_1) | instskip(NEXT) | instid1(VALU_DEP_1)
	v_mad_co_u64_u32 v[22:23], null, s8, v11, 0
	v_dual_mov_b32 v10, v23 :: v_dual_mov_b32 v23, v25
	v_mov_b32_e32 v25, v27
	v_mov_b32_e32 v27, v29
	s_delay_alu instid0(VALU_DEP_3) | instskip(SKIP_3) | instid1(VALU_DEP_4)
	v_mad_co_u64_u32 v[29:30], null, s9, v11, v[10:11]
	v_fma_f64 v[10:11], v[12:13], 2.0, -v[2:3]
	v_fma_f64 v[12:13], v[18:19], 2.0, -v[4:5]
	v_mad_co_u64_u32 v[18:19], null, s9, v31, v[23:24]
	v_mov_b32_e32 v23, v29
	v_fma_f64 v[14:15], v[16:17], 2.0, -v[6:7]
	v_fma_f64 v[16:17], v[20:21], 2.0, -v[8:9]
	v_mad_co_u64_u32 v[19:20], null, s9, v32, v[25:26]
	v_mad_co_u64_u32 v[20:21], null, s9, v33, v[27:28]
	v_mov_b32_e32 v25, v18
	s_delay_alu instid0(VALU_DEP_3) | instskip(SKIP_1) | instid1(VALU_DEP_4)
	v_mov_b32_e32 v27, v19
	v_lshlrev_b64_e32 v[18:19], 4, v[22:23]
	v_mov_b32_e32 v29, v20
	s_delay_alu instid0(VALU_DEP_4) | instskip(NEXT) | instid1(VALU_DEP_4)
	v_lshlrev_b64_e32 v[20:21], 4, v[24:25]
	v_lshlrev_b64_e32 v[22:23], 4, v[26:27]
	s_delay_alu instid0(VALU_DEP_4)
	v_add_co_u32 v18, vcc_lo, v0, v18
	s_wait_alu 0xfffd
	v_add_co_ci_u32_e32 v19, vcc_lo, v1, v19, vcc_lo
	v_lshlrev_b64_e32 v[24:25], 4, v[28:29]
	v_add_co_u32 v20, vcc_lo, v0, v20
	s_wait_alu 0xfffd
	v_add_co_ci_u32_e32 v21, vcc_lo, v1, v21, vcc_lo
	v_add_co_u32 v22, vcc_lo, v0, v22
	s_wait_alu 0xfffd
	v_add_co_ci_u32_e32 v23, vcc_lo, v1, v23, vcc_lo
	;; [unrolled: 3-line block ×3, first 2 shown]
	s_clause 0x3
	global_store_b128 v[18:19], v[14:17], off
	global_store_b128 v[20:21], v[10:13], off
	;; [unrolled: 1-line block ×4, first 2 shown]
.LBB0_28:
	s_nop 0
	s_sendmsg sendmsg(MSG_DEALLOC_VGPRS)
	s_endpgm
	.section	.rodata,"a",@progbits
	.p2align	6, 0x0
	.amdhsa_kernel fft_rtc_back_len1452_factors_11_3_11_4_wgs_132_tpt_132_halfLds_dp_ip_CI_sbrr_dirReg
		.amdhsa_group_segment_fixed_size 0
		.amdhsa_private_segment_fixed_size 0
		.amdhsa_kernarg_size 88
		.amdhsa_user_sgpr_count 2
		.amdhsa_user_sgpr_dispatch_ptr 0
		.amdhsa_user_sgpr_queue_ptr 0
		.amdhsa_user_sgpr_kernarg_segment_ptr 1
		.amdhsa_user_sgpr_dispatch_id 0
		.amdhsa_user_sgpr_private_segment_size 0
		.amdhsa_wavefront_size32 1
		.amdhsa_uses_dynamic_stack 0
		.amdhsa_enable_private_segment 0
		.amdhsa_system_sgpr_workgroup_id_x 1
		.amdhsa_system_sgpr_workgroup_id_y 0
		.amdhsa_system_sgpr_workgroup_id_z 0
		.amdhsa_system_sgpr_workgroup_info 0
		.amdhsa_system_vgpr_workitem_id 0
		.amdhsa_next_free_vgpr 135
		.amdhsa_next_free_sgpr 40
		.amdhsa_reserve_vcc 1
		.amdhsa_float_round_mode_32 0
		.amdhsa_float_round_mode_16_64 0
		.amdhsa_float_denorm_mode_32 3
		.amdhsa_float_denorm_mode_16_64 3
		.amdhsa_fp16_overflow 0
		.amdhsa_workgroup_processor_mode 1
		.amdhsa_memory_ordered 1
		.amdhsa_forward_progress 0
		.amdhsa_round_robin_scheduling 0
		.amdhsa_exception_fp_ieee_invalid_op 0
		.amdhsa_exception_fp_denorm_src 0
		.amdhsa_exception_fp_ieee_div_zero 0
		.amdhsa_exception_fp_ieee_overflow 0
		.amdhsa_exception_fp_ieee_underflow 0
		.amdhsa_exception_fp_ieee_inexact 0
		.amdhsa_exception_int_div_zero 0
	.end_amdhsa_kernel
	.text
.Lfunc_end0:
	.size	fft_rtc_back_len1452_factors_11_3_11_4_wgs_132_tpt_132_halfLds_dp_ip_CI_sbrr_dirReg, .Lfunc_end0-fft_rtc_back_len1452_factors_11_3_11_4_wgs_132_tpt_132_halfLds_dp_ip_CI_sbrr_dirReg
                                        ; -- End function
	.section	.AMDGPU.csdata,"",@progbits
; Kernel info:
; codeLenInByte = 10604
; NumSgprs: 42
; NumVgprs: 135
; ScratchSize: 0
; MemoryBound: 1
; FloatMode: 240
; IeeeMode: 1
; LDSByteSize: 0 bytes/workgroup (compile time only)
; SGPRBlocks: 5
; VGPRBlocks: 16
; NumSGPRsForWavesPerEU: 42
; NumVGPRsForWavesPerEU: 135
; Occupancy: 10
; WaveLimiterHint : 1
; COMPUTE_PGM_RSRC2:SCRATCH_EN: 0
; COMPUTE_PGM_RSRC2:USER_SGPR: 2
; COMPUTE_PGM_RSRC2:TRAP_HANDLER: 0
; COMPUTE_PGM_RSRC2:TGID_X_EN: 1
; COMPUTE_PGM_RSRC2:TGID_Y_EN: 0
; COMPUTE_PGM_RSRC2:TGID_Z_EN: 0
; COMPUTE_PGM_RSRC2:TIDIG_COMP_CNT: 0
	.text
	.p2alignl 7, 3214868480
	.fill 96, 4, 3214868480
	.type	__hip_cuid_70c160897dbe85f7,@object ; @__hip_cuid_70c160897dbe85f7
	.section	.bss,"aw",@nobits
	.globl	__hip_cuid_70c160897dbe85f7
__hip_cuid_70c160897dbe85f7:
	.byte	0                               ; 0x0
	.size	__hip_cuid_70c160897dbe85f7, 1

	.ident	"AMD clang version 19.0.0git (https://github.com/RadeonOpenCompute/llvm-project roc-6.4.0 25133 c7fe45cf4b819c5991fe208aaa96edf142730f1d)"
	.section	".note.GNU-stack","",@progbits
	.addrsig
	.addrsig_sym __hip_cuid_70c160897dbe85f7
	.amdgpu_metadata
---
amdhsa.kernels:
  - .args:
      - .actual_access:  read_only
        .address_space:  global
        .offset:         0
        .size:           8
        .value_kind:     global_buffer
      - .offset:         8
        .size:           8
        .value_kind:     by_value
      - .actual_access:  read_only
        .address_space:  global
        .offset:         16
        .size:           8
        .value_kind:     global_buffer
      - .actual_access:  read_only
        .address_space:  global
        .offset:         24
        .size:           8
        .value_kind:     global_buffer
      - .offset:         32
        .size:           8
        .value_kind:     by_value
      - .actual_access:  read_only
        .address_space:  global
        .offset:         40
        .size:           8
        .value_kind:     global_buffer
      - .actual_access:  read_only
        .address_space:  global
        .offset:         48
        .size:           8
        .value_kind:     global_buffer
      - .offset:         56
        .size:           4
        .value_kind:     by_value
      - .actual_access:  read_only
        .address_space:  global
        .offset:         64
        .size:           8
        .value_kind:     global_buffer
      - .actual_access:  read_only
        .address_space:  global
        .offset:         72
        .size:           8
        .value_kind:     global_buffer
      - .address_space:  global
        .offset:         80
        .size:           8
        .value_kind:     global_buffer
    .group_segment_fixed_size: 0
    .kernarg_segment_align: 8
    .kernarg_segment_size: 88
    .language:       OpenCL C
    .language_version:
      - 2
      - 0
    .max_flat_workgroup_size: 132
    .name:           fft_rtc_back_len1452_factors_11_3_11_4_wgs_132_tpt_132_halfLds_dp_ip_CI_sbrr_dirReg
    .private_segment_fixed_size: 0
    .sgpr_count:     42
    .sgpr_spill_count: 0
    .symbol:         fft_rtc_back_len1452_factors_11_3_11_4_wgs_132_tpt_132_halfLds_dp_ip_CI_sbrr_dirReg.kd
    .uniform_work_group_size: 1
    .uses_dynamic_stack: false
    .vgpr_count:     135
    .vgpr_spill_count: 0
    .wavefront_size: 32
    .workgroup_processor_mode: 1
amdhsa.target:   amdgcn-amd-amdhsa--gfx1201
amdhsa.version:
  - 1
  - 2
...

	.end_amdgpu_metadata
